;; amdgpu-corpus repo=ROCm/rocFFT kind=compiled arch=gfx950 opt=O3
	.text
	.amdgcn_target "amdgcn-amd-amdhsa--gfx950"
	.amdhsa_code_object_version 6
	.protected	fft_rtc_fwd_len3240_factors_3_3_10_6_6_wgs_108_tpt_108_halfLds_dp_op_CI_CI_sbrr_dirReg ; -- Begin function fft_rtc_fwd_len3240_factors_3_3_10_6_6_wgs_108_tpt_108_halfLds_dp_op_CI_CI_sbrr_dirReg
	.globl	fft_rtc_fwd_len3240_factors_3_3_10_6_6_wgs_108_tpt_108_halfLds_dp_op_CI_CI_sbrr_dirReg
	.p2align	8
	.type	fft_rtc_fwd_len3240_factors_3_3_10_6_6_wgs_108_tpt_108_halfLds_dp_op_CI_CI_sbrr_dirReg,@function
fft_rtc_fwd_len3240_factors_3_3_10_6_6_wgs_108_tpt_108_halfLds_dp_op_CI_CI_sbrr_dirReg: ; @fft_rtc_fwd_len3240_factors_3_3_10_6_6_wgs_108_tpt_108_halfLds_dp_op_CI_CI_sbrr_dirReg
; %bb.0:
	s_load_dwordx4 s[12:15], s[0:1], 0x18
	s_load_dwordx4 s[8:11], s[0:1], 0x0
	;; [unrolled: 1-line block ×3, first 2 shown]
	v_mul_u32_u24_e32 v1, 0x25f, v0
	v_add_u32_sdwa v6, s2, v1 dst_sel:DWORD dst_unused:UNUSED_PAD src0_sel:DWORD src1_sel:WORD_1
	s_waitcnt lgkmcnt(0)
	s_load_dwordx2 s[18:19], s[12:13], 0x0
	s_load_dwordx2 s[16:17], s[14:15], 0x0
	v_mov_b32_e32 v2, 0
	v_cmp_lt_u64_e64 s[2:3], s[10:11], 2
	v_mov_b32_e32 v7, v2
	s_and_b64 vcc, exec, s[2:3]
	v_mov_b64_e32 v[4:5], 0
	s_cbranch_vccnz .LBB0_8
; %bb.1:
	s_load_dwordx2 s[2:3], s[0:1], 0x10
	s_add_u32 s20, s14, 8
	s_addc_u32 s21, s15, 0
	s_add_u32 s22, s12, 8
	s_addc_u32 s23, s13, 0
	s_waitcnt lgkmcnt(0)
	s_add_u32 s24, s2, 8
	v_mov_b64_e32 v[4:5], 0
	s_addc_u32 s25, s3, 0
	s_mov_b64 s[26:27], 1
	v_mov_b64_e32 v[150:151], v[4:5]
.LBB0_2:                                ; =>This Inner Loop Header: Depth=1
	s_load_dwordx2 s[28:29], s[24:25], 0x0
                                        ; implicit-def: $vgpr154_vgpr155
	s_waitcnt lgkmcnt(0)
	v_or_b32_e32 v3, s29, v7
	v_cmp_ne_u64_e32 vcc, 0, v[2:3]
	s_and_saveexec_b64 s[2:3], vcc
	s_xor_b64 s[30:31], exec, s[2:3]
	s_cbranch_execz .LBB0_4
; %bb.3:                                ;   in Loop: Header=BB0_2 Depth=1
	v_cvt_f32_u32_e32 v1, s28
	v_cvt_f32_u32_e32 v3, s29
	s_sub_u32 s2, 0, s28
	s_subb_u32 s3, 0, s29
	v_fmac_f32_e32 v1, 0x4f800000, v3
	v_rcp_f32_e32 v1, v1
	s_nop 0
	v_mul_f32_e32 v1, 0x5f7ffffc, v1
	v_mul_f32_e32 v3, 0x2f800000, v1
	v_trunc_f32_e32 v3, v3
	v_fmac_f32_e32 v1, 0xcf800000, v3
	v_cvt_u32_f32_e32 v3, v3
	v_cvt_u32_f32_e32 v1, v1
	v_mul_lo_u32 v8, s2, v3
	v_mul_hi_u32 v10, s2, v1
	v_mul_lo_u32 v9, s3, v1
	v_add_u32_e32 v10, v10, v8
	v_mul_lo_u32 v12, s2, v1
	v_add_u32_e32 v13, v10, v9
	v_mul_hi_u32 v8, v1, v12
	v_mul_hi_u32 v11, v1, v13
	v_mul_lo_u32 v10, v1, v13
	v_mov_b32_e32 v9, v2
	v_lshl_add_u64 v[8:9], v[8:9], 0, v[10:11]
	v_mul_hi_u32 v11, v3, v12
	v_mul_lo_u32 v12, v3, v12
	v_add_co_u32_e32 v8, vcc, v8, v12
	v_mul_hi_u32 v10, v3, v13
	s_nop 0
	v_addc_co_u32_e32 v8, vcc, v9, v11, vcc
	v_mov_b32_e32 v9, v2
	s_nop 0
	v_addc_co_u32_e32 v11, vcc, 0, v10, vcc
	v_mul_lo_u32 v10, v3, v13
	v_lshl_add_u64 v[8:9], v[8:9], 0, v[10:11]
	v_add_co_u32_e32 v1, vcc, v1, v8
	v_mul_lo_u32 v10, s2, v1
	s_nop 0
	v_addc_co_u32_e32 v3, vcc, v3, v9, vcc
	v_mul_lo_u32 v8, s2, v3
	v_mul_hi_u32 v9, s2, v1
	v_add_u32_e32 v8, v9, v8
	v_mul_lo_u32 v9, s3, v1
	v_add_u32_e32 v12, v8, v9
	v_mul_hi_u32 v14, v3, v10
	v_mul_lo_u32 v15, v3, v10
	v_mul_hi_u32 v9, v1, v12
	v_mul_lo_u32 v8, v1, v12
	v_mul_hi_u32 v10, v1, v10
	v_mov_b32_e32 v11, v2
	v_lshl_add_u64 v[8:9], v[10:11], 0, v[8:9]
	v_add_co_u32_e32 v8, vcc, v8, v15
	v_mul_hi_u32 v13, v3, v12
	s_nop 0
	v_addc_co_u32_e32 v8, vcc, v9, v14, vcc
	v_mul_lo_u32 v10, v3, v12
	s_nop 0
	v_addc_co_u32_e32 v11, vcc, 0, v13, vcc
	v_mov_b32_e32 v9, v2
	v_lshl_add_u64 v[8:9], v[8:9], 0, v[10:11]
	v_add_co_u32_e32 v1, vcc, v1, v8
	v_mul_hi_u32 v10, v6, v1
	s_nop 0
	v_addc_co_u32_e32 v3, vcc, v3, v9, vcc
	v_mad_u64_u32 v[8:9], s[2:3], v6, v3, 0
	v_mov_b32_e32 v11, v2
	v_lshl_add_u64 v[8:9], v[10:11], 0, v[8:9]
	v_mad_u64_u32 v[12:13], s[2:3], v7, v1, 0
	v_add_co_u32_e32 v1, vcc, v8, v12
	v_mad_u64_u32 v[10:11], s[2:3], v7, v3, 0
	s_nop 0
	v_addc_co_u32_e32 v8, vcc, v9, v13, vcc
	v_mov_b32_e32 v9, v2
	s_nop 0
	v_addc_co_u32_e32 v11, vcc, 0, v11, vcc
	v_lshl_add_u64 v[8:9], v[8:9], 0, v[10:11]
	v_mul_lo_u32 v1, s29, v8
	v_mul_lo_u32 v3, s28, v9
	v_mad_u64_u32 v[10:11], s[2:3], s28, v8, 0
	v_add3_u32 v1, v11, v3, v1
	v_sub_u32_e32 v3, v7, v1
	v_mov_b32_e32 v11, s29
	v_sub_co_u32_e32 v14, vcc, v6, v10
	v_lshl_add_u64 v[12:13], v[8:9], 0, 1
	s_nop 0
	v_subb_co_u32_e64 v3, s[2:3], v3, v11, vcc
	v_subrev_co_u32_e64 v10, s[2:3], s28, v14
	v_subb_co_u32_e32 v1, vcc, v7, v1, vcc
	s_nop 0
	v_subbrev_co_u32_e64 v3, s[2:3], 0, v3, s[2:3]
	v_cmp_le_u32_e64 s[2:3], s29, v3
	v_cmp_le_u32_e32 vcc, s29, v1
	s_nop 0
	v_cndmask_b32_e64 v11, 0, -1, s[2:3]
	v_cmp_le_u32_e64 s[2:3], s28, v10
	s_nop 1
	v_cndmask_b32_e64 v10, 0, -1, s[2:3]
	v_cmp_eq_u32_e64 s[2:3], s29, v3
	s_nop 1
	v_cndmask_b32_e64 v3, v11, v10, s[2:3]
	v_lshl_add_u64 v[10:11], v[8:9], 0, 2
	v_cmp_ne_u32_e64 s[2:3], 0, v3
	s_nop 1
	v_cndmask_b32_e64 v3, v13, v11, s[2:3]
	v_cndmask_b32_e64 v11, 0, -1, vcc
	v_cmp_le_u32_e32 vcc, s28, v14
	s_nop 1
	v_cndmask_b32_e64 v13, 0, -1, vcc
	v_cmp_eq_u32_e32 vcc, s29, v1
	s_nop 1
	v_cndmask_b32_e32 v1, v11, v13, vcc
	v_cmp_ne_u32_e32 vcc, 0, v1
	v_cndmask_b32_e64 v1, v12, v10, s[2:3]
	s_nop 0
	v_cndmask_b32_e32 v155, v9, v3, vcc
	v_cndmask_b32_e32 v154, v8, v1, vcc
.LBB0_4:                                ;   in Loop: Header=BB0_2 Depth=1
	s_andn2_saveexec_b64 s[2:3], s[30:31]
	s_cbranch_execz .LBB0_6
; %bb.5:                                ;   in Loop: Header=BB0_2 Depth=1
	v_cvt_f32_u32_e32 v1, s28
	s_sub_i32 s30, 0, s28
	v_mov_b32_e32 v155, v2
	v_rcp_iflag_f32_e32 v1, v1
	s_nop 0
	v_mul_f32_e32 v1, 0x4f7ffffe, v1
	v_cvt_u32_f32_e32 v1, v1
	v_mul_lo_u32 v3, s30, v1
	v_mul_hi_u32 v3, v1, v3
	v_add_u32_e32 v1, v1, v3
	v_mul_hi_u32 v1, v6, v1
	v_mul_lo_u32 v3, v1, s28
	v_sub_u32_e32 v3, v6, v3
	v_add_u32_e32 v8, 1, v1
	v_subrev_u32_e32 v9, s28, v3
	v_cmp_le_u32_e32 vcc, s28, v3
	s_nop 1
	v_cndmask_b32_e32 v3, v3, v9, vcc
	v_cndmask_b32_e32 v1, v1, v8, vcc
	v_add_u32_e32 v8, 1, v1
	v_cmp_le_u32_e32 vcc, s28, v3
	s_nop 1
	v_cndmask_b32_e32 v154, v1, v8, vcc
.LBB0_6:                                ;   in Loop: Header=BB0_2 Depth=1
	s_or_b64 exec, exec, s[2:3]
	v_mad_u64_u32 v[8:9], s[2:3], v154, s28, 0
	s_load_dwordx2 s[2:3], s[22:23], 0x0
	v_mul_lo_u32 v1, v155, s28
	v_mul_lo_u32 v3, v154, s29
	s_load_dwordx2 s[28:29], s[20:21], 0x0
	s_add_u32 s26, s26, 1
	v_add3_u32 v1, v9, v3, v1
	v_sub_co_u32_e32 v3, vcc, v6, v8
	s_addc_u32 s27, s27, 0
	s_nop 0
	v_subb_co_u32_e32 v1, vcc, v7, v1, vcc
	s_add_u32 s20, s20, 8
	s_waitcnt lgkmcnt(0)
	v_mul_lo_u32 v6, s2, v1
	v_mul_lo_u32 v7, s3, v3
	v_mad_u64_u32 v[4:5], s[2:3], s2, v3, v[4:5]
	s_addc_u32 s21, s21, 0
	v_add3_u32 v5, v7, v5, v6
	v_mul_lo_u32 v1, s28, v1
	v_mul_lo_u32 v6, s29, v3
	v_mad_u64_u32 v[150:151], s[2:3], s28, v3, v[150:151]
	s_add_u32 s22, s22, 8
	v_add3_u32 v151, v6, v151, v1
	s_addc_u32 s23, s23, 0
	v_mov_b64_e32 v[6:7], s[10:11]
	s_add_u32 s24, s24, 8
	v_cmp_ge_u64_e32 vcc, s[26:27], v[6:7]
	s_addc_u32 s25, s25, 0
	s_cbranch_vccnz .LBB0_9
; %bb.7:                                ;   in Loop: Header=BB0_2 Depth=1
	v_mov_b64_e32 v[6:7], v[154:155]
	s_branch .LBB0_2
.LBB0_8:
	v_mov_b64_e32 v[150:151], v[4:5]
	v_mov_b64_e32 v[154:155], v[6:7]
.LBB0_9:
	s_load_dwordx2 s[0:1], s[0:1], 0x28
	s_lshl_b64 s[2:3], s[10:11], 3
	s_add_u32 s10, s14, s2
	s_addc_u32 s11, s15, s3
                                        ; implicit-def: $vgpr158_vgpr159
                                        ; implicit-def: $vgpr156_vgpr157
                                        ; implicit-def: $vgpr152_vgpr153
                                        ; implicit-def: $vgpr180
                                        ; implicit-def: $vgpr181
                                        ; implicit-def: $vgpr207
                                        ; implicit-def: $vgpr208
	s_waitcnt lgkmcnt(0)
	v_cmp_gt_u64_e32 vcc, s[0:1], v[154:155]
	v_cmp_le_u64_e64 s[0:1], s[0:1], v[154:155]
	s_and_saveexec_b64 s[14:15], s[0:1]
	s_xor_b64 s[0:1], exec, s[14:15]
	s_cbranch_execz .LBB0_11
; %bb.10:
	s_mov_b32 s14, 0x25ed098
	v_mul_hi_u32 v1, v0, s14
	v_mul_u32_u24_e32 v1, 0x6c, v1
	v_sub_u32_e32 v180, v0, v1
	v_add_u32_e32 v181, 0x6c, v180
	v_add_u32_e32 v153, 0x144, v180
	;; [unrolled: 1-line block ×9, first 2 shown]
                                        ; implicit-def: $vgpr0
                                        ; implicit-def: $vgpr4_vgpr5
.LBB0_11:
	s_or_saveexec_b64 s[0:1], s[0:1]
                                        ; implicit-def: $vgpr50_vgpr51
                                        ; implicit-def: $vgpr54_vgpr55
                                        ; implicit-def: $vgpr2_vgpr3
                                        ; implicit-def: $vgpr66_vgpr67
                                        ; implicit-def: $vgpr78_vgpr79
                                        ; implicit-def: $vgpr6_vgpr7
                                        ; implicit-def: $vgpr86_vgpr87
                                        ; implicit-def: $vgpr62_vgpr63
                                        ; implicit-def: $vgpr10_vgpr11
                                        ; implicit-def: $vgpr38_vgpr39
                                        ; implicit-def: $vgpr46_vgpr47
                                        ; implicit-def: $vgpr22_vgpr23
                                        ; implicit-def: $vgpr58_vgpr59
                                        ; implicit-def: $vgpr74_vgpr75
                                        ; implicit-def: $vgpr18_vgpr19
                                        ; implicit-def: $vgpr90_vgpr91
                                        ; implicit-def: $vgpr30_vgpr31
                                        ; implicit-def: $vgpr26_vgpr27
                                        ; implicit-def: $vgpr34_vgpr35
                                        ; implicit-def: $vgpr42_vgpr43
                                        ; implicit-def: $vgpr14_vgpr15
                                        ; implicit-def: $vgpr118_vgpr119
                                        ; implicit-def: $vgpr126_vgpr127
                                        ; implicit-def: $vgpr70_vgpr71
                                        ; implicit-def: $vgpr138_vgpr139
                                        ; implicit-def: $vgpr142_vgpr143
                                        ; implicit-def: $vgpr130_vgpr131
                                        ; implicit-def: $vgpr94_vgpr95
                                        ; implicit-def: $vgpr82_vgpr83
                                        ; implicit-def: $vgpr148_vgpr149
	s_xor_b64 exec, exec, s[0:1]
	s_cbranch_execz .LBB0_13
; %bb.12:
	s_add_u32 s2, s12, s2
	s_addc_u32 s3, s13, s3
	s_load_dwordx2 s[2:3], s[2:3], 0x0
	s_mov_b32 s12, 0x25ed098
	s_waitcnt lgkmcnt(0)
	v_mul_lo_u32 v1, s3, v154
	v_mul_lo_u32 v2, s2, v155
	v_mad_u64_u32 v[6:7], s[2:3], s2, v154, 0
	v_add3_u32 v7, v7, v2, v1
	v_mul_hi_u32 v1, v0, s12
	v_mul_u32_u24_e32 v1, 0x6c, v1
	v_sub_u32_e32 v180, v0, v1
	v_mad_u64_u32 v[2:3], s[2:3], s18, v180, 0
	v_mov_b32_e32 v0, v3
	v_mad_u64_u32 v[0:1], s[2:3], s19, v180, v[0:1]
	v_mov_b32_e32 v3, v0
	v_lshl_add_u64 v[0:1], v[6:7], 4, s[4:5]
	v_add_u32_e32 v7, 0x438, v180
	v_lshl_add_u64 v[0:1], v[4:5], 4, v[0:1]
	v_mad_u64_u32 v[4:5], s[2:3], s18, v7, 0
	v_mov_b32_e32 v6, v5
	v_mad_u64_u32 v[6:7], s[2:3], s19, v7, v[6:7]
	v_add_u32_e32 v9, 0x870, v180
	v_mov_b32_e32 v5, v6
	v_mad_u64_u32 v[6:7], s[2:3], s18, v9, 0
	v_mov_b32_e32 v8, v7
	v_mad_u64_u32 v[8:9], s[2:3], s19, v9, v[8:9]
	v_add_u32_e32 v181, 0x6c, v180
	v_mov_b32_e32 v7, v8
	v_mad_u64_u32 v[8:9], s[2:3], s18, v181, 0
	v_mov_b32_e32 v10, v9
	v_mad_u64_u32 v[10:11], s[2:3], s19, v181, v[10:11]
	v_add_u32_e32 v13, 0x4a4, v180
	v_mov_b32_e32 v9, v10
	v_mad_u64_u32 v[10:11], s[2:3], s18, v13, 0
	v_mov_b32_e32 v12, v11
	v_mad_u64_u32 v[12:13], s[2:3], s19, v13, v[12:13]
	v_add_u32_e32 v15, 0x8dc, v180
	v_mov_b32_e32 v11, v12
	v_mad_u64_u32 v[12:13], s[2:3], s18, v15, 0
	v_mov_b32_e32 v14, v13
	v_mad_u64_u32 v[14:15], s[2:3], s19, v15, v[14:15]
	v_add_u32_e32 v17, 0x510, v180
	v_mov_b32_e32 v13, v14
	v_mad_u64_u32 v[14:15], s[2:3], s18, v17, 0
	v_mov_b32_e32 v16, v15
	v_mad_u64_u32 v[16:17], s[2:3], s19, v17, v[16:17]
	v_add_u32_e32 v19, 0x948, v180
	v_mov_b32_e32 v15, v16
	v_mad_u64_u32 v[16:17], s[2:3], s18, v19, 0
	v_mov_b32_e32 v18, v17
	v_mad_u64_u32 v[18:19], s[2:3], s19, v19, v[18:19]
	v_add_u32_e32 v152, 0xd8, v180
	v_mov_b32_e32 v17, v18
	v_mad_u64_u32 v[18:19], s[2:3], s18, v152, 0
	v_mov_b32_e32 v20, v19
	v_add_u32_e32 v153, 0x144, v180
	v_mad_u64_u32 v[20:21], s[2:3], s19, v152, v[20:21]
	v_mov_b32_e32 v19, v20
	v_mad_u64_u32 v[20:21], s[2:3], s18, v153, 0
	v_mov_b32_e32 v22, v21
	v_mad_u64_u32 v[22:23], s[2:3], s19, v153, v[22:23]
	v_add_u32_e32 v25, 0x57c, v180
	v_mov_b32_e32 v21, v22
	v_mad_u64_u32 v[22:23], s[2:3], s18, v25, 0
	v_mov_b32_e32 v24, v23
	v_mad_u64_u32 v[24:25], s[2:3], s19, v25, v[24:25]
	v_add_u32_e32 v27, 0x9b4, v180
	v_mov_b32_e32 v23, v24
	v_mad_u64_u32 v[24:25], s[2:3], s18, v27, 0
	v_mov_b32_e32 v26, v25
	v_mad_u64_u32 v[26:27], s[2:3], s19, v27, v[26:27]
	v_add_u32_e32 v29, 0x5e8, v180
	v_mov_b32_e32 v25, v26
	v_mad_u64_u32 v[26:27], s[2:3], s18, v29, 0
	v_mov_b32_e32 v28, v27
	v_mad_u64_u32 v[28:29], s[2:3], s19, v29, v[28:29]
	v_add_u32_e32 v31, 0xa20, v180
	v_mov_b32_e32 v27, v28
	v_mad_u64_u32 v[28:29], s[2:3], s18, v31, 0
	v_mov_b32_e32 v30, v29
	v_mad_u64_u32 v[30:31], s[2:3], s19, v31, v[30:31]
	v_add_u32_e32 v157, 0x1b0, v180
	v_mov_b32_e32 v29, v30
	v_mad_u64_u32 v[30:31], s[2:3], s18, v157, 0
	v_mov_b32_e32 v32, v31
	v_add_u32_e32 v156, 0x21c, v180
	v_mad_u64_u32 v[32:33], s[2:3], s19, v157, v[32:33]
	v_mov_b32_e32 v31, v32
	v_mad_u64_u32 v[32:33], s[2:3], s18, v156, 0
	v_mov_b32_e32 v34, v33
	v_mad_u64_u32 v[34:35], s[2:3], s19, v156, v[34:35]
	v_add_u32_e32 v37, 0x654, v180
	v_mov_b32_e32 v33, v34
	v_mad_u64_u32 v[34:35], s[2:3], s18, v37, 0
	v_mov_b32_e32 v36, v35
	v_mad_u64_u32 v[36:37], s[2:3], s19, v37, v[36:37]
	v_add_u32_e32 v39, 0xa8c, v180
	v_mov_b32_e32 v35, v36
	v_mad_u64_u32 v[36:37], s[2:3], s18, v39, 0
	v_mov_b32_e32 v38, v37
	v_mad_u64_u32 v[38:39], s[2:3], s19, v39, v[38:39]
	v_add_u32_e32 v41, 0x6c0, v180
	v_mov_b32_e32 v37, v38
	v_mad_u64_u32 v[38:39], s[2:3], s18, v41, 0
	v_mov_b32_e32 v40, v39
	v_mad_u64_u32 v[40:41], s[2:3], s19, v41, v[40:41]
	v_add_u32_e32 v43, 0xaf8, v180
	v_mov_b32_e32 v39, v40
	v_mad_u64_u32 v[40:41], s[2:3], s18, v43, 0
	v_mov_b32_e32 v42, v41
	v_mad_u64_u32 v[42:43], s[2:3], s19, v43, v[42:43]
	v_add_u32_e32 v158, 0x288, v180
	v_mov_b32_e32 v41, v42
	;; [unrolled: 30-line block ×3, first 2 shown]
	v_mad_u64_u32 v[54:55], s[2:3], s18, v57, 0
	v_mov_b32_e32 v56, v55
	v_mad_u64_u32 v[56:57], s[2:3], s19, v57, v[56:57]
	v_add_u32_e32 v208, 0x3cc, v180
	v_mov_b32_e32 v55, v56
	v_mad_u64_u32 v[56:57], s[2:3], s18, v208, 0
	v_mov_b32_e32 v58, v57
	v_mad_u64_u32 v[58:59], s[2:3], s19, v208, v[58:59]
	v_add_u32_e32 v61, 0x804, v180
	v_mov_b32_e32 v57, v58
	;; [unrolled: 5-line block ×3, first 2 shown]
	v_mad_u64_u32 v[60:61], s[2:3], s18, v63, 0
	v_mov_b32_e32 v62, v61
	v_mad_u64_u32 v[62:63], s[2:3], s19, v63, v[62:63]
	v_lshl_add_u64 v[2:3], v[2:3], 4, v[0:1]
	v_lshl_add_u64 v[4:5], v[4:5], 4, v[0:1]
	;; [unrolled: 1-line block ×21, first 2 shown]
	v_mov_b32_e32 v61, v62
	v_lshl_add_u64 v[96:97], v[36:37], 4, v[0:1]
	v_lshl_add_u64 v[98:99], v[38:39], 4, v[0:1]
	;; [unrolled: 1-line block ×9, first 2 shown]
	global_load_dwordx4 v[146:149], v[2:3], off
	global_load_dwordx4 v[80:83], v[4:5], off
	;; [unrolled: 1-line block ×13, first 2 shown]
                                        ; kill: killed $vgpr66_vgpr67
                                        ; kill: killed $vgpr6_vgpr7
                                        ; kill: killed $vgpr24_vgpr25
                                        ; kill: killed $vgpr64_vgpr65
                                        ; kill: killed $vgpr4_vgpr5
                                        ; kill: killed $vgpr22_vgpr23
                                        ; kill: killed $vgpr10_vgpr11
                                        ; kill: killed $vgpr2_vgpr3
                                        ; kill: killed $vgpr20_vgpr21
                                        ; kill: killed $vgpr16_vgpr17
                                        ; kill: killed $vgpr26_vgpr27
                                        ; kill: killed $vgpr18_vgpr19
                                        ; kill: killed $vgpr8_vgpr9
	global_load_dwordx4 v[88:91], v[76:77], off
	s_nop 0
	global_load_dwordx4 v[24:27], v[78:79], off
	global_load_dwordx4 v[16:19], v[84:85], off
	;; [unrolled: 1-line block ×6, first 2 shown]
                                        ; kill: killed $vgpr86_vgpr87
                                        ; kill: killed $vgpr100_vgpr101
                                        ; kill: killed $vgpr84_vgpr85
                                        ; kill: killed $vgpr76_vgpr77
                                        ; kill: killed $vgpr98_vgpr99
                                        ; kill: killed $vgpr78_vgpr79
                                        ; kill: killed $vgpr96_vgpr97
	global_load_dwordx4 v[20:23], v[102:103], off
	global_load_dwordx4 v[8:11], v[104:105], off
	;; [unrolled: 1-line block ×3, first 2 shown]
                                        ; kill: killed $vgpr106_vgpr107
                                        ; kill: killed $vgpr104_vgpr105
                                        ; kill: killed $vgpr102_vgpr103
	global_load_dwordx4 v[84:87], v[48:49], off
	global_load_dwordx4 v[4:7], v[50:51], off
                                        ; kill: killed $vgpr50_vgpr51
                                        ; kill: killed $vgpr48_vgpr49
	global_load_dwordx4 v[76:79], v[52:53], off
	global_load_dwordx4 v[64:67], v[54:55], off
	global_load_dwordx4 v[0:3], v[108:109], off
	s_nop 0
	global_load_dwordx4 v[52:55], v[110:111], off
	global_load_dwordx4 v[48:51], v[112:113], off
.LBB0_13:
	s_or_b64 exec, exec, s[0:1]
	s_waitcnt vmcnt(27)
	v_add_f64 v[98:99], v[92:93], v[80:81]
	s_mov_b32 s2, 0xe8584caa
	v_add_f64 v[96:97], v[80:81], v[146:147]
	v_fmac_f64_e32 v[146:147], -0.5, v[98:99]
	v_add_f64 v[100:101], v[82:83], -v[94:95]
	s_mov_b32 s3, 0x3febb67a
	s_mov_b32 s5, 0xbfebb67a
	s_mov_b32 s4, s2
	v_fma_f64 v[98:99], s[2:3], v[100:101], v[146:147]
	v_fmac_f64_e32 v[146:147], s[4:5], v[100:101]
	v_add_f64 v[100:101], v[82:83], v[148:149]
	v_add_f64 v[82:83], v[94:95], v[82:83]
	v_add_f64 v[178:179], v[80:81], -v[92:93]
	s_waitcnt vmcnt(24)
	v_add_f64 v[80:81], v[136:137], v[140:141]
	v_add_f64 v[96:97], v[92:93], v[96:97]
	;; [unrolled: 1-line block ×3, first 2 shown]
	v_fmac_f64_e32 v[148:149], -0.5, v[82:83]
	v_add_f64 v[82:83], v[140:141], v[128:129]
	v_fmac_f64_e32 v[128:129], -0.5, v[80:81]
	v_add_f64 v[92:93], v[142:143], -v[138:139]
	s_waitcnt vmcnt(22)
	v_add_f64 v[94:95], v[116:117], v[124:125]
	v_fma_f64 v[80:81], s[2:3], v[92:93], v[128:129]
	v_fmac_f64_e32 v[128:129], s[4:5], v[92:93]
	s_waitcnt vmcnt(21)
	v_add_f64 v[92:93], v[124:125], v[68:69]
	v_fmac_f64_e32 v[68:69], -0.5, v[94:95]
	v_add_f64 v[94:95], v[126:127], -v[118:119]
	s_waitcnt vmcnt(18)
	v_add_f64 v[102:103], v[32:33], v[40:41]
	v_fma_f64 v[100:101], s[2:3], v[94:95], v[68:69]
	v_fmac_f64_e32 v[68:69], s[4:5], v[94:95]
	v_add_f64 v[94:95], v[40:41], v[12:13]
	v_fmac_f64_e32 v[12:13], -0.5, v[102:103]
	v_add_f64 v[102:103], v[42:43], -v[34:35]
	s_waitcnt vmcnt(16)
	v_add_f64 v[106:107], v[88:89], v[28:29]
	v_fma_f64 v[104:105], s[2:3], v[102:103], v[12:13]
	v_fmac_f64_e32 v[12:13], s[4:5], v[102:103]
	s_waitcnt vmcnt(15)
	v_add_f64 v[102:103], v[28:29], v[24:25]
	v_fmac_f64_e32 v[24:25], -0.5, v[106:107]
	v_add_f64 v[106:107], v[30:31], -v[90:91]
	s_waitcnt vmcnt(12)
	v_add_f64 v[110:111], v[56:57], v[72:73]
	v_fma_f64 v[108:109], s[2:3], v[106:107], v[24:25]
	v_fmac_f64_e32 v[24:25], s[4:5], v[106:107]
	v_add_f64 v[106:107], v[72:73], v[16:17]
	v_fmac_f64_e32 v[16:17], -0.5, v[110:111]
	v_add_f64 v[110:111], v[74:75], -v[58:59]
	s_waitcnt vmcnt(10)
	v_add_f64 v[114:115], v[36:37], v[44:45]
	v_mad_u32_u24 v204, v180, 24, 0
	v_add_f64 v[82:83], v[136:137], v[82:83]
	v_mad_i32_i24 v211, v181, 24, 0
	v_fma_f64 v[112:113], s[2:3], v[110:111], v[16:17]
	v_fmac_f64_e32 v[16:17], s[4:5], v[110:111]
	s_waitcnt vmcnt(9)
	v_add_f64 v[110:111], v[44:45], v[20:21]
	v_fmac_f64_e32 v[20:21], -0.5, v[114:115]
	v_add_f64 v[114:115], v[46:47], -v[38:39]
	s_waitcnt vmcnt(6)
	v_add_f64 v[122:123], v[84:85], v[60:61]
	ds_write2_b64 v204, v[96:97], v[98:99] offset1:1
	ds_write_b64 v204, v[146:147] offset:16
	ds_write2_b64 v211, v[82:83], v[80:81] offset1:1
	s_waitcnt vmcnt(3)
	v_add_f64 v[82:83], v[64:65], v[76:77]
	v_fma_f64 v[120:121], s[2:3], v[114:115], v[20:21]
	v_fmac_f64_e32 v[20:21], s[4:5], v[114:115]
	v_add_f64 v[114:115], v[60:61], v[8:9]
	v_fmac_f64_e32 v[8:9], -0.5, v[122:123]
	v_add_f64 v[96:97], v[62:63], -v[86:87]
	v_add_f64 v[80:81], v[76:77], v[4:5]
	v_fmac_f64_e32 v[4:5], -0.5, v[82:83]
	v_add_f64 v[82:83], v[78:79], -v[66:67]
	v_fma_f64 v[98:99], s[2:3], v[96:97], v[8:9]
	v_fmac_f64_e32 v[8:9], s[4:5], v[96:97]
	v_fma_f64 v[96:97], s[2:3], v[82:83], v[4:5]
	v_fmac_f64_e32 v[4:5], s[4:5], v[82:83]
	v_add_f64 v[82:83], v[116:117], v[92:93]
	v_mad_i32_i24 v212, v152, 24, 0
	s_waitcnt vmcnt(0)
	v_add_f64 v[92:93], v[48:49], v[52:53]
	ds_write_b64 v211, v[128:129] offset:16
	ds_write2_b64 v212, v[82:83], v[100:101] offset1:1
	v_add_f64 v[82:83], v[52:53], v[0:1]
	v_fmac_f64_e32 v[0:1], -0.5, v[92:93]
	v_add_f64 v[92:93], v[32:33], v[94:95]
	ds_write_b64 v212, v[68:69] offset:16
	v_mad_i32_i24 v190, v153, 24, 0
	v_add_f64 v[68:69], v[54:55], -v[50:51]
	ds_write2_b64 v190, v[92:93], v[104:105] offset1:1
	v_fma_f64 v[92:93], s[2:3], v[68:69], v[0:1]
	v_fmac_f64_e32 v[0:1], s[4:5], v[68:69]
	v_add_f64 v[68:69], v[88:89], v[102:103]
	v_add_f64 v[94:95], v[56:57], v[106:107]
	;; [unrolled: 1-line block ×6, first 2 shown]
	v_mad_i32_i24 v193, v157, 24, 0
	v_mad_i32_i24 v182, v156, 24, 0
	;; [unrolled: 1-line block ×6, first 2 shown]
	s_load_dwordx2 s[10:11], s[10:11], 0x0
	ds_write_b64 v190, v[12:13] offset:16
	ds_write2_b64 v193, v[68:69], v[108:109] offset1:1
	ds_write_b64 v193, v[24:25] offset:16
	ds_write2_b64 v182, v[94:95], v[112:113] offset1:1
	;; [unrolled: 2-line block ×6, first 2 shown]
	ds_write_b64 v216, v[0:1] offset:16
	v_lshlrev_b32_e32 v0, 4, v158
	v_sub_u32_e32 v205, v213, v0
	v_lshlrev_b32_e32 v0, 4, v159
	v_sub_u32_e32 v210, v214, v0
	;; [unrolled: 2-line block ×3, first 2 shown]
	v_lshlrev_b32_e32 v0, 4, v208
	v_lshl_add_u32 v183, v180, 3, 0
	v_lshlrev_b32_e32 v194, 4, v153
	v_lshlrev_b32_e32 v197, 4, v157
	;; [unrolled: 1-line block ×3, first 2 shown]
	v_sub_u32_e32 v206, v216, v0
	v_fma_f64 v[0:1], s[4:5], v[178:179], v[148:149]
	v_add_f64 v[4:5], v[138:139], v[142:143]
	s_waitcnt lgkmcnt(0)
	s_barrier
	v_add_u32_e32 v184, 0x2000, v183
	v_add_u32_e32 v185, 0x4000, v183
	v_lshl_add_u32 v186, v181, 3, 0
	v_lshl_add_u32 v189, v152, 3, 0
	v_add_u32_e32 v191, 0x2800, v183
	v_add_u32_e32 v192, 0x4800, v183
	v_sub_u32_e32 v202, v190, v194
	v_sub_u32_e32 v201, v193, v197
	v_add_u32_e32 v195, 0x2c00, v183
	v_add_u32_e32 v196, 0x5000, v183
	v_sub_u32_e32 v203, v182, v198
	v_add_u32_e32 v188, 0x3400, v183
	v_add_u32_e32 v187, 0x5400, v183
	;; [unrolled: 1-line block ×4, first 2 shown]
	ds_read_b64 v[174:175], v183
	ds_read_b64 v[172:173], v186
	;; [unrolled: 1-line block ×10, first 2 shown]
	ds_read2_b64 v[144:147], v184 offset0:56 offset1:164
	ds_read2_b64 v[132:135], v185 offset0:112 offset1:220
	;; [unrolled: 1-line block ×10, first 2 shown]
	s_waitcnt lgkmcnt(0)
	s_barrier
	ds_write2_b64 v204, v[176:177], v[0:1] offset1:1
	v_add_f64 v[0:1], v[142:143], v[130:131]
	v_add_f64 v[8:9], v[140:141], -v[136:137]
	v_fmac_f64_e32 v[130:131], -0.5, v[4:5]
	v_fmac_f64_e32 v[148:149], s[2:3], v[178:179]
	v_add_f64 v[0:1], v[138:139], v[0:1]
	v_fma_f64 v[4:5], s[4:5], v[8:9], v[130:131]
	ds_write_b64 v204, v[148:149] offset:16
	ds_write2_b64 v211, v[0:1], v[4:5] offset1:1
	v_add_f64 v[4:5], v[118:119], v[126:127]
	v_fmac_f64_e32 v[130:131], s[2:3], v[8:9]
	v_add_f64 v[0:1], v[126:127], v[70:71]
	v_add_f64 v[8:9], v[124:125], -v[116:117]
	v_fmac_f64_e32 v[70:71], -0.5, v[4:5]
	v_add_f64 v[0:1], v[118:119], v[0:1]
	v_fma_f64 v[4:5], s[4:5], v[8:9], v[70:71]
	ds_write_b64 v211, v[130:131] offset:16
	ds_write2_b64 v212, v[0:1], v[4:5] offset1:1
	v_add_f64 v[0:1], v[42:43], v[14:15]
	v_add_f64 v[4:5], v[34:35], v[42:43]
	;; [unrolled: 1-line block ×3, first 2 shown]
	v_fmac_f64_e32 v[70:71], s[2:3], v[8:9]
	v_add_f64 v[8:9], v[40:41], -v[32:33]
	v_add_f64 v[0:1], v[34:35], v[0:1]
	v_add_f64 v[16:17], v[90:91], v[30:31]
	v_add_f64 v[20:21], v[28:29], -v[88:89]
	v_add_f64 v[28:29], v[58:59], v[74:75]
	v_add_f64 v[24:25], v[58:59], v[24:25]
	;; [unrolled: 1-line block ×8, first 2 shown]
	v_fmac_f64_e32 v[14:15], -0.5, v[4:5]
	v_add_f64 v[12:13], v[30:31], v[26:27]
	v_add_f64 v[30:31], v[72:73], -v[56:57]
	v_add_f64 v[36:37], v[44:45], -v[36:37]
	v_add_f64 v[32:33], v[38:39], v[32:33]
	v_add_f64 v[38:39], v[62:63], v[10:11]
	v_add_f64 v[42:43], v[60:61], -v[84:85]
	v_add_f64 v[44:45], v[78:79], v[6:7]
	v_add_f64 v[56:57], v[76:77], -v[64:65]
	v_add_f64 v[48:49], v[52:53], -v[48:49]
	v_fma_f64 v[4:5], s[4:5], v[8:9], v[14:15]
	v_fmac_f64_e32 v[26:27], -0.5, v[16:17]
	v_fmac_f64_e32 v[18:19], -0.5, v[28:29]
	;; [unrolled: 1-line block ×6, first 2 shown]
	s_movk_i32 s0, 0xab
	ds_write_b64 v212, v[70:71] offset:16
	v_add_f64 v[12:13], v[90:91], v[12:13]
	v_add_f64 v[38:39], v[86:87], v[38:39]
	;; [unrolled: 1-line block ×4, first 2 shown]
	v_fmac_f64_e32 v[14:15], s[2:3], v[8:9]
	v_fma_f64 v[8:9], s[4:5], v[20:21], v[26:27]
	v_fmac_f64_e32 v[26:27], s[2:3], v[20:21]
	v_fma_f64 v[16:17], s[4:5], v[30:31], v[18:19]
	;; [unrolled: 2-line block ×6, first 2 shown]
	v_fmac_f64_e32 v[2:3], s[2:3], v[48:49]
	ds_write2_b64 v190, v[0:1], v[4:5] offset1:1
	ds_write_b64 v190, v[14:15] offset:16
	ds_write2_b64 v193, v[12:13], v[8:9] offset1:1
	ds_write_b64 v193, v[26:27] offset:16
	ds_write2_b64 v182, v[24:25], v[16:17] offset1:1
	ds_write_b64 v182, v[18:19] offset:16
	ds_write2_b64 v213, v[32:33], v[20:21] offset1:1
	ds_write_b64 v213, v[22:23] offset:16
	ds_write2_b64 v214, v[38:39], v[28:29] offset1:1
	ds_write_b64 v214, v[10:11] offset:16
	ds_write2_b64 v215, v[44:45], v[30:31] offset1:1
	ds_write_b64 v215, v[6:7] offset:16
	ds_write2_b64 v216, v[50:51], v[34:35] offset1:1
	ds_write_b64 v216, v[2:3] offset:16
	v_mul_lo_u16_sdwa v0, v180, s0 dst_sel:DWORD dst_unused:UNUSED_PAD src0_sel:BYTE_0 src1_sel:DWORD
	v_lshrrev_b16_e32 v136, 9, v0
	v_mul_lo_u16_e32 v0, 3, v136
	v_sub_u16_e32 v137, v180, v0
	v_mov_b32_e32 v204, 5
	v_lshlrev_b32_sdwa v16, v204, v137 dst_sel:DWORD dst_unused:UNUSED_PAD src0_sel:DWORD src1_sel:BYTE_0
	s_waitcnt lgkmcnt(0)
	s_barrier
	global_load_dwordx4 v[8:11], v16, s[8:9]
	v_mul_lo_u16_sdwa v0, v181, s0 dst_sel:DWORD dst_unused:UNUSED_PAD src0_sel:BYTE_0 src1_sel:DWORD
	v_lshrrev_b16_e32 v50, 9, v0
	v_mul_lo_u16_e32 v0, 3, v50
	v_sub_u16_e32 v51, v181, v0
	v_lshlrev_b32_sdwa v17, v204, v51 dst_sel:DWORD dst_unused:UNUSED_PAD src0_sel:DWORD src1_sel:BYTE_0
	s_mov_b32 s0, 0xaaab
	global_load_dwordx4 v[12:15], v17, s[8:9]
	global_load_dwordx4 v[4:7], v16, s[8:9] offset:16
	global_load_dwordx4 v[0:3], v17, s[8:9] offset:16
	v_mul_u32_u24_sdwa v16, v152, s0 dst_sel:DWORD dst_unused:UNUSED_PAD src0_sel:WORD_0 src1_sel:DWORD
	v_lshrrev_b32_e32 v117, 17, v16
	v_mul_lo_u16_e32 v16, 3, v117
	v_sub_u16_e32 v116, v152, v16
	v_lshlrev_b32_e32 v16, 5, v116
	v_mul_u32_u24_sdwa v17, v153, s0 dst_sel:DWORD dst_unused:UNUSED_PAD src0_sel:WORD_0 src1_sel:DWORD
	global_load_dwordx4 v[20:23], v16, s[8:9]
	v_lshrrev_b32_e32 v119, 17, v17
	v_mul_lo_u16_e32 v17, 3, v119
	v_sub_u16_e32 v118, v153, v17
	v_lshlrev_b32_e32 v17, 5, v118
	v_mul_u32_u24_sdwa v32, v157, s0 dst_sel:DWORD dst_unused:UNUSED_PAD src0_sel:WORD_0 src1_sel:DWORD
	global_load_dwordx4 v[28:31], v17, s[8:9]
	global_load_dwordx4 v[24:27], v16, s[8:9] offset:16
	s_nop 0
	global_load_dwordx4 v[16:19], v17, s[8:9] offset:16
	v_lshrrev_b32_e32 v125, 17, v32
	v_mul_lo_u16_e32 v32, 3, v125
	v_sub_u16_e32 v124, v157, v32
	v_mul_u32_u24_sdwa v37, v156, s0 dst_sel:DWORD dst_unused:UNUSED_PAD src0_sel:WORD_0 src1_sel:DWORD
	v_lshlrev_b32_e32 v36, 5, v124
	v_lshrrev_b32_e32 v127, 17, v37
	global_load_dwordx4 v[32:35], v36, s[8:9]
	v_mul_lo_u16_e32 v37, 3, v127
	v_sub_u16_e32 v126, v156, v37
	v_lshlrev_b32_e32 v37, 5, v126
	v_mul_u32_u24_sdwa v48, v158, s0 dst_sel:DWORD dst_unused:UNUSED_PAD src0_sel:WORD_0 src1_sel:DWORD
	global_load_dwordx4 v[44:47], v37, s[8:9]
	global_load_dwordx4 v[40:43], v36, s[8:9] offset:16
	s_nop 0
	global_load_dwordx4 v[36:39], v37, s[8:9] offset:16
	v_lshrrev_b32_e32 v212, 17, v48
	v_mul_lo_u16_e32 v48, 3, v212
	v_mul_u32_u24_sdwa v49, v159, s0 dst_sel:DWORD dst_unused:UNUSED_PAD src0_sel:WORD_0 src1_sel:DWORD
	v_sub_u16_e32 v211, v158, v48
	v_lshrrev_b32_e32 v214, 17, v49
	v_lshlrev_b32_e32 v48, 5, v211
	v_mul_lo_u16_e32 v49, 3, v214
	global_load_dwordx4 v[138:141], v48, s[8:9]
	v_sub_u16_e32 v213, v159, v49
	v_lshlrev_b32_e32 v49, 5, v213
	global_load_dwordx4 v[176:179], v49, s[8:9]
	global_load_dwordx4 v[218:221], v48, s[8:9] offset:16
	v_mul_u32_u24_sdwa v48, v207, s0 dst_sel:DWORD dst_unused:UNUSED_PAD src0_sel:WORD_0 src1_sel:DWORD
	v_lshrrev_b32_e32 v215, 17, v48
	v_mul_lo_u16_e32 v48, 3, v215
	v_sub_u16_e32 v207, v207, v48
	global_load_dwordx4 v[222:225], v49, s[8:9] offset:16
	v_lshlrev_b32_e32 v52, 5, v207
	global_load_dwordx4 v[226:229], v52, s[8:9]
	ds_read2_b64 v[54:57], v184 offset0:56 offset1:164
	v_mul_u32_u24_sdwa v48, v208, s0 dst_sel:DWORD dst_unused:UNUSED_PAD src0_sel:WORD_0 src1_sel:DWORD
	v_lshrrev_b32_e32 v216, 17, v48
	v_mul_lo_u16_e32 v48, 3, v216
	v_sub_u16_e32 v208, v208, v48
	v_lshlrev_b32_e32 v53, 5, v208
	global_load_dwordx4 v[230:233], v53, s[8:9]
	global_load_dwordx4 v[234:237], v52, s[8:9] offset:16
	ds_read2_b64 v[58:61], v185 offset0:112 offset1:220
	v_mov_b32_e32 v156, 3
	s_mov_b32 s0, 0x5040100
	s_movk_i32 s1, 0x48
	s_mov_b32 s12, 0x134454ff
	s_mov_b32 s13, 0x3fee6f0e
	;; [unrolled: 1-line block ×9, first 2 shown]
	s_waitcnt vmcnt(18) lgkmcnt(1)
	v_mul_f64 v[48:49], v[54:55], v[10:11]
	v_fma_f64 v[48:49], v[144:145], v[8:9], -v[48:49]
	v_mul_f64 v[10:11], v[144:145], v[10:11]
	global_load_dwordx4 v[142:145], v53, s[8:9] offset:16
	v_fmac_f64_e32 v[10:11], v[54:55], v[8:9]
	s_waitcnt vmcnt(18)
	v_mul_f64 v[8:9], v[56:57], v[14:15]
	v_mul_f64 v[54:55], v[146:147], v[14:15]
	v_fma_f64 v[52:53], v[146:147], v[12:13], -v[8:9]
	v_fmac_f64_e32 v[54:55], v[56:57], v[12:13]
	ds_read2_b64 v[12:15], v191 offset0:16 offset1:124
	s_waitcnt vmcnt(17) lgkmcnt(1)
	v_mul_f64 v[8:9], v[58:59], v[6:7]
	v_mul_f64 v[6:7], v[132:133], v[6:7]
	v_fma_f64 v[8:9], v[132:133], v[4:5], -v[8:9]
	v_fmac_f64_e32 v[6:7], v[58:59], v[4:5]
	s_waitcnt vmcnt(16)
	v_mul_f64 v[4:5], v[60:61], v[2:3]
	v_mul_f64 v[70:71], v[134:135], v[2:3]
	v_fma_f64 v[62:63], v[134:135], v[0:1], -v[4:5]
	v_fmac_f64_e32 v[70:71], v[60:61], v[0:1]
	s_waitcnt vmcnt(15) lgkmcnt(0)
	v_mul_f64 v[0:1], v[12:13], v[22:23]
	v_fma_f64 v[58:59], v[120:121], v[20:21], -v[0:1]
	ds_read2_b64 v[0:3], v192 offset0:72 offset1:180
	v_mul_f64 v[64:65], v[120:121], v[22:23]
	s_waitcnt vmcnt(14)
	v_mul_f64 v[60:61], v[122:123], v[30:31]
	v_fmac_f64_e32 v[64:65], v[12:13], v[20:21]
	v_mul_f64 v[4:5], v[14:15], v[30:31]
	v_fmac_f64_e32 v[60:61], v[14:15], v[28:29]
	ds_read2_b64 v[12:15], v195 offset0:104 offset1:212
	v_fma_f64 v[56:57], v[122:123], v[28:29], -v[4:5]
	s_waitcnt vmcnt(13) lgkmcnt(1)
	v_mul_f64 v[4:5], v[0:1], v[26:27]
	v_fma_f64 v[84:85], v[112:113], v[24:25], -v[4:5]
	v_mul_f64 v[112:113], v[112:113], v[26:27]
	v_fmac_f64_e32 v[112:113], v[0:1], v[24:25]
	s_waitcnt vmcnt(12)
	v_mul_f64 v[0:1], v[2:3], v[18:19]
	v_fma_f64 v[74:75], v[114:115], v[16:17], -v[0:1]
	v_mul_f64 v[88:89], v[114:115], v[18:19]
	s_waitcnt vmcnt(11) lgkmcnt(0)
	v_mul_f64 v[0:1], v[12:13], v[34:35]
	v_fmac_f64_e32 v[88:89], v[2:3], v[16:17]
	v_fma_f64 v[26:27], v[108:109], v[32:33], -v[0:1]
	v_mul_f64 v[76:77], v[108:109], v[34:35]
	ds_read2_b64 v[0:3], v196 offset0:32 offset1:140
	s_waitcnt vmcnt(10)
	v_mul_f64 v[66:67], v[110:111], v[46:47]
	v_fmac_f64_e32 v[76:77], v[12:13], v[32:33]
	v_mul_f64 v[4:5], v[14:15], v[46:47]
	v_fmac_f64_e32 v[66:67], v[14:15], v[44:45]
	ds_read2_b64 v[12:15], v188 offset0:64 offset1:172
	v_fma_f64 v[24:25], v[110:111], v[44:45], -v[4:5]
	s_waitcnt vmcnt(9)
	v_mul_f64 v[110:111], v[104:105], v[42:43]
	s_waitcnt lgkmcnt(1)
	v_mul_f64 v[4:5], v[0:1], v[42:43]
	v_fmac_f64_e32 v[110:111], v[0:1], v[40:41]
	s_waitcnt vmcnt(8)
	v_mul_f64 v[0:1], v[2:3], v[38:39]
	v_fma_f64 v[108:109], v[104:105], v[40:41], -v[4:5]
	v_fma_f64 v[104:105], v[106:107], v[36:37], -v[0:1]
	v_mul_f64 v[106:107], v[106:107], v[38:39]
	s_waitcnt vmcnt(7) lgkmcnt(0)
	v_mul_f64 v[0:1], v[12:13], v[140:141]
	v_fmac_f64_e32 v[106:107], v[2:3], v[36:37]
	v_fma_f64 v[78:79], v[100:101], v[138:139], -v[0:1]
	v_mul_f64 v[100:101], v[100:101], v[140:141]
	ds_read2_b64 v[0:3], v187 offset0:120 offset1:228
	s_waitcnt vmcnt(6)
	v_mul_f64 v[86:87], v[102:103], v[178:179]
	v_fmac_f64_e32 v[100:101], v[12:13], v[138:139]
	v_mul_f64 v[4:5], v[14:15], v[178:179]
	v_fmac_f64_e32 v[86:87], v[14:15], v[176:177]
	ds_read2_b64 v[12:15], v200 offset0:24 offset1:132
	s_waitcnt vmcnt(5)
	v_mul_f64 v[132:133], v[96:97], v[220:221]
	v_fma_f64 v[72:73], v[102:103], v[176:177], -v[4:5]
	s_waitcnt lgkmcnt(1)
	v_mul_f64 v[4:5], v[0:1], v[220:221]
	v_fmac_f64_e32 v[132:133], v[0:1], v[218:219]
	s_waitcnt vmcnt(4)
	v_mul_f64 v[0:1], v[2:3], v[224:225]
	v_fma_f64 v[102:103], v[98:99], v[222:223], -v[0:1]
	v_mul_f64 v[130:131], v[98:99], v[224:225]
	s_waitcnt vmcnt(3) lgkmcnt(0)
	v_mul_f64 v[0:1], v[12:13], v[228:229]
	v_fma_f64 v[114:115], v[96:97], v[218:219], -v[4:5]
	v_fmac_f64_e32 v[130:131], v[2:3], v[222:223]
	v_fma_f64 v[96:97], v[92:93], v[226:227], -v[0:1]
	ds_read2_b64 v[0:3], v199 offset0:80 offset1:188
	s_waitcnt vmcnt(2)
	v_mul_f64 v[4:5], v[14:15], v[232:233]
	s_waitcnt vmcnt(1)
	v_mul_f64 v[134:135], v[80:81], v[236:237]
	v_fma_f64 v[90:91], v[94:95], v[230:231], -v[4:5]
	v_mul_f64 v[98:99], v[92:93], v[228:229]
	s_waitcnt lgkmcnt(0)
	v_mul_f64 v[4:5], v[0:1], v[236:237]
	v_fmac_f64_e32 v[134:135], v[0:1], v[234:235]
	v_mul_f64 v[92:93], v[94:95], v[232:233]
	v_fma_f64 v[94:95], v[80:81], v[234:235], -v[4:5]
	s_waitcnt vmcnt(0)
	v_mul_f64 v[0:1], v[2:3], v[144:145]
	v_fma_f64 v[80:81], v[82:83], v[142:143], -v[0:1]
	v_mul_f64 v[82:83], v[82:83], v[144:145]
	v_fmac_f64_e32 v[82:83], v[2:3], v[142:143]
	v_add_f64 v[2:3], v[48:49], v[8:9]
	v_add_f64 v[0:1], v[174:175], v[48:49]
	v_fmac_f64_e32 v[174:175], -0.5, v[2:3]
	v_mul_u32_u24_e32 v2, 0x48, v136
	v_lshlrev_b32_sdwa v3, v156, v137 dst_sel:DWORD dst_unused:UNUSED_PAD src0_sel:DWORD src1_sel:BYTE_0
	v_add3_u32 v217, 0, v2, v3
	v_add_f64 v[2:3], v[10:11], -v[6:7]
	v_add_f64 v[0:1], v[0:1], v[8:9]
	v_fma_f64 v[4:5], s[2:3], v[2:3], v[174:175]
	v_fmac_f64_e32 v[174:175], s[4:5], v[2:3]
	v_add_f64 v[2:3], v[52:53], v[62:63]
	ds_read_b64 v[144:145], v201
	ds_read_b64 v[138:139], v203
	;; [unrolled: 1-line block ×10, first 2 shown]
	s_waitcnt lgkmcnt(0)
	s_barrier
	ds_write2_b64 v217, v[0:1], v[4:5] offset1:3
	v_add_f64 v[0:1], v[172:173], v[52:53]
	v_fmac_f64_e32 v[172:173], -0.5, v[2:3]
	v_mul_u32_u24_e32 v2, 0x48, v50
	v_lshlrev_b32_sdwa v3, v156, v51 dst_sel:DWORD dst_unused:UNUSED_PAD src0_sel:DWORD src1_sel:BYTE_0
	ds_write_b64 v217, v[174:175] offset:48
	v_add3_u32 v174, 0, v2, v3
	v_add_f64 v[2:3], v[54:55], -v[70:71]
	v_add_f64 v[0:1], v[0:1], v[62:63]
	v_fma_f64 v[4:5], s[2:3], v[2:3], v[172:173]
	v_fmac_f64_e32 v[172:173], s[4:5], v[2:3]
	v_add_f64 v[2:3], v[58:59], v[84:85]
	ds_write2_b64 v174, v[0:1], v[4:5] offset1:3
	v_add_f64 v[0:1], v[170:171], v[58:59]
	v_fmac_f64_e32 v[170:171], -0.5, v[2:3]
	v_perm_b32 v2, v119, v117, s0
	v_fmac_f64_e32 v[98:99], v[12:13], v[226:227]
	v_pk_mul_lo_u16 v12, v2, s1 op_sel_hi:[1,0]
	v_lshlrev_b32_e32 v2, 3, v116
	v_and_b32_e32 v3, 0xfff8, v12
	ds_write_b64 v174, v[172:173] offset:48
	v_add3_u32 v172, 0, v3, v2
	v_add_f64 v[2:3], v[64:65], -v[112:113]
	v_add_f64 v[0:1], v[0:1], v[84:85]
	v_fma_f64 v[4:5], s[2:3], v[2:3], v[170:171]
	v_fmac_f64_e32 v[170:171], s[4:5], v[2:3]
	v_add_f64 v[2:3], v[56:57], v[74:75]
	ds_write2_b64 v172, v[0:1], v[4:5] offset1:3
	v_add_f64 v[0:1], v[168:169], v[56:57]
	v_fmac_f64_e32 v[168:169], -0.5, v[2:3]
	v_lshrrev_b32_e32 v2, 16, v12
	v_lshlrev_b32_e32 v3, 3, v118
	v_add3_u32 v173, 0, v2, v3
	v_add_f64 v[2:3], v[60:61], -v[88:89]
	v_add_f64 v[0:1], v[0:1], v[74:75]
	v_fma_f64 v[4:5], s[2:3], v[2:3], v[168:169]
	v_fmac_f64_e32 v[168:169], s[4:5], v[2:3]
	v_add_f64 v[2:3], v[26:27], v[108:109]
	ds_write_b64 v172, v[170:171] offset:48
	ds_write2_b64 v173, v[0:1], v[4:5] offset1:3
	v_add_f64 v[0:1], v[166:167], v[26:27]
	v_fmac_f64_e32 v[166:167], -0.5, v[2:3]
	v_perm_b32 v2, v125, v127, s0
	v_pk_mul_lo_u16 v12, v2, s1 op_sel_hi:[1,0]
	v_lshlrev_b32_e32 v2, 3, v124
	v_lshrrev_b32_e32 v3, 16, v12
	v_add3_u32 v175, 0, v3, v2
	v_add_f64 v[2:3], v[76:77], -v[110:111]
	v_add_f64 v[0:1], v[0:1], v[108:109]
	v_fma_f64 v[4:5], s[2:3], v[2:3], v[166:167]
	ds_write_b64 v173, v[168:169] offset:48
	ds_write2_b64 v175, v[0:1], v[4:5] offset1:3
	v_add_f64 v[0:1], v[178:179], v[10:11]
	v_add_f64 v[168:169], v[0:1], v[6:7]
	;; [unrolled: 1-line block ×3, first 2 shown]
	v_fmac_f64_e32 v[166:167], s[4:5], v[2:3]
	v_add_f64 v[2:3], v[24:25], v[104:105]
	v_fmac_f64_e32 v[178:179], -0.5, v[0:1]
	v_add_f64 v[0:1], v[164:165], v[24:25]
	v_fmac_f64_e32 v[164:165], -0.5, v[2:3]
	v_add_f64 v[2:3], v[66:67], -v[106:107]
	v_fma_f64 v[4:5], s[2:3], v[2:3], v[164:165]
	v_fmac_f64_e32 v[164:165], s[4:5], v[2:3]
	v_and_b32_e32 v2, 0xfff8, v12
	v_lshlrev_b32_e32 v3, 3, v126
	ds_write_b64 v175, v[166:167] offset:48
	v_add_f64 v[0:1], v[0:1], v[104:105]
	v_add3_u32 v166, 0, v2, v3
	v_add_f64 v[2:3], v[78:79], v[114:115]
	ds_write2_b64 v166, v[0:1], v[4:5] offset1:3
	v_add_f64 v[0:1], v[162:163], v[78:79]
	v_fmac_f64_e32 v[162:163], -0.5, v[2:3]
	v_add_f64 v[2:3], v[100:101], -v[132:133]
	v_add_f64 v[6:7], v[72:73], v[102:103]
	v_fma_f64 v[4:5], s[2:3], v[2:3], v[162:163]
	v_fmac_f64_e32 v[162:163], s[4:5], v[2:3]
	v_add_f64 v[2:3], v[160:161], v[72:73]
	v_fmac_f64_e32 v[160:161], -0.5, v[6:7]
	v_add_f64 v[6:7], v[86:87], -v[130:131]
	v_add_f64 v[170:171], v[48:49], -v[8:9]
	v_fma_f64 v[8:9], s[2:3], v[6:7], v[160:161]
	v_fmac_f64_e32 v[160:161], s[4:5], v[6:7]
	v_perm_b32 v6, v214, v212, s0
	v_pk_mul_lo_u16 v12, v6, s1 op_sel_hi:[1,0]
	v_lshlrev_b32_e32 v6, 3, v211
	v_and_b32_e32 v7, 0xfff8, v12
	ds_write_b64 v166, v[164:165] offset:48
	v_add3_u32 v164, 0, v7, v6
	v_add_f64 v[0:1], v[0:1], v[114:115]
	ds_write2_b64 v164, v[0:1], v[4:5] offset1:3
	v_add_f64 v[4:5], v[96:97], v[94:95]
	v_add_f64 v[0:1], v[128:129], v[96:97]
	v_fmac_f64_e32 v[128:129], -0.5, v[4:5]
	v_add_f64 v[4:5], v[98:99], -v[134:135]
	v_add_f64 v[10:11], v[90:91], v[80:81]
	v_fma_f64 v[6:7], s[2:3], v[4:5], v[128:129]
	v_fmac_f64_e32 v[128:129], s[4:5], v[4:5]
	v_add_f64 v[4:5], v[68:69], v[90:91]
	v_fmac_f64_e32 v[68:69], -0.5, v[10:11]
	v_lshrrev_b32_e32 v10, 16, v12
	v_lshlrev_b32_e32 v11, 3, v213
	v_fmac_f64_e32 v[92:93], v[14:15], v[230:231]
	v_add_f64 v[2:3], v[2:3], v[102:103]
	v_add3_u32 v165, 0, v10, v11
	ds_write_b64 v164, v[162:163] offset:48
	ds_write2_b64 v165, v[2:3], v[8:9] offset1:3
	v_add_f64 v[2:3], v[92:93], -v[82:83]
	v_fma_f64 v[8:9], s[2:3], v[2:3], v[68:69]
	v_fmac_f64_e32 v[68:69], s[4:5], v[2:3]
	v_add_f64 v[2:3], v[4:5], v[80:81]
	v_mul_u32_u24_e32 v4, 0x48, v215
	v_lshlrev_b32_e32 v5, 3, v207
	v_add_f64 v[0:1], v[0:1], v[94:95]
	ds_write_b64 v165, v[160:161] offset:48
	v_add3_u32 v160, 0, v4, v5
	ds_write2_b64 v160, v[0:1], v[6:7] offset1:3
	ds_write_b64 v160, v[128:129] offset:48
	v_mul_u32_u24_e32 v0, 0x48, v216
	v_lshlrev_b32_e32 v1, 3, v208
	v_add3_u32 v128, 0, v0, v1
	ds_write2_b64 v128, v[2:3], v[8:9] offset1:3
	ds_write_b64 v128, v[68:69] offset:48
	v_fma_f64 v[68:69], s[4:5], v[170:171], v[178:179]
	s_waitcnt lgkmcnt(0)
	s_barrier
	ds_read_b64 v[124:125], v205
	ds_read_b64 v[122:123], v206
	ds_read2_b64 v[44:47], v191 offset0:16 offset1:124
	ds_read_b64 v[120:121], v183
	ds_read_b64 v[118:119], v186
	v_add_u32_e32 v163, 0xc00, v183
	v_add_u32_e32 v162, 0x1400, v183
	ds_read_b64 v[126:127], v202
	ds_read_b64 v[116:117], v189
	ds_read2_b64 v[20:23], v195 offset0:104 offset1:212
	ds_read2_b64 v[48:51], v200 offset0:24 offset1:132
	;; [unrolled: 1-line block ×11, first 2 shown]
	s_waitcnt lgkmcnt(0)
	s_barrier
	ds_write2_b64 v217, v[168:169], v[68:69] offset1:3
	v_add_f64 v[68:69], v[176:177], v[54:55]
	v_add_f64 v[54:55], v[54:55], v[70:71]
	v_fmac_f64_e32 v[176:177], -0.5, v[54:55]
	v_add_f64 v[52:53], v[52:53], -v[62:63]
	v_add_f64 v[62:63], v[64:65], v[112:113]
	v_fma_f64 v[54:55], s[4:5], v[52:53], v[176:177]
	v_fmac_f64_e32 v[176:177], s[2:3], v[52:53]
	v_add_f64 v[52:53], v[158:159], v[64:65]
	v_fmac_f64_e32 v[158:159], -0.5, v[62:63]
	v_add_f64 v[58:59], v[58:59], -v[84:85]
	v_fma_f64 v[62:63], s[4:5], v[58:59], v[158:159]
	v_fmac_f64_e32 v[158:159], s[2:3], v[58:59]
	v_add_f64 v[58:59], v[148:149], v[60:61]
	v_add_f64 v[60:61], v[60:61], v[88:89]
	v_fmac_f64_e32 v[148:149], -0.5, v[60:61]
	v_add_f64 v[56:57], v[56:57], -v[74:75]
	v_add_f64 v[64:65], v[76:77], v[110:111]
	v_fma_f64 v[60:61], s[4:5], v[56:57], v[148:149]
	v_fmac_f64_e32 v[148:149], s[2:3], v[56:57]
	v_add_f64 v[56:57], v[144:145], v[76:77]
	v_fmac_f64_e32 v[144:145], -0.5, v[64:65]
	v_add_f64 v[26:27], v[26:27], -v[108:109]
	v_fma_f64 v[64:65], s[4:5], v[26:27], v[144:145]
	v_fmac_f64_e32 v[144:145], s[2:3], v[26:27]
	v_add_f64 v[26:27], v[138:139], v[66:67]
	v_add_f64 v[66:67], v[66:67], v[106:107]
	v_add_f64 v[68:69], v[68:69], v[70:71]
	v_fmac_f64_e32 v[138:139], -0.5, v[66:67]
	v_add_f64 v[24:25], v[24:25], -v[104:105]
	v_add_f64 v[70:71], v[100:101], v[132:133]
	v_fma_f64 v[66:67], s[4:5], v[24:25], v[138:139]
	v_fmac_f64_e32 v[138:139], s[2:3], v[24:25]
	v_add_f64 v[24:25], v[140:141], v[100:101]
	v_fmac_f64_e32 v[140:141], -0.5, v[70:71]
	v_add_f64 v[70:71], v[78:79], -v[114:115]
	v_add_f64 v[76:77], v[86:87], v[130:131]
	v_fma_f64 v[74:75], s[4:5], v[70:71], v[140:141]
	v_fmac_f64_e32 v[140:141], s[2:3], v[70:71]
	v_add_f64 v[70:71], v[136:137], v[86:87]
	;; [unrolled: 6-line block ×3, first 2 shown]
	v_fmac_f64_e32 v[146:147], -0.5, v[78:79]
	v_add_f64 v[78:79], v[96:97], -v[94:95]
	v_fma_f64 v[84:85], s[4:5], v[78:79], v[146:147]
	v_fmac_f64_e32 v[146:147], s[2:3], v[78:79]
	v_add_f64 v[78:79], v[142:143], v[92:93]
	v_add_f64 v[78:79], v[78:79], v[82:83]
	;; [unrolled: 1-line block ×3, first 2 shown]
	v_fmac_f64_e32 v[178:179], s[2:3], v[170:171]
	v_add_f64 v[24:25], v[24:25], v[132:133]
	v_fmac_f64_e32 v[142:143], -0.5, v[82:83]
	v_add_f64 v[80:81], v[90:91], -v[80:81]
	ds_write_b64 v217, v[178:179] offset:48
	v_add_f64 v[52:53], v[52:53], v[112:113]
	v_add_f64 v[58:59], v[58:59], v[88:89]
	;; [unrolled: 1-line block ×6, first 2 shown]
	v_fma_f64 v[82:83], s[4:5], v[80:81], v[142:143]
	v_fmac_f64_e32 v[142:143], s[2:3], v[80:81]
	ds_write2_b64 v174, v[68:69], v[54:55] offset1:3
	ds_write_b64 v174, v[176:177] offset:48
	ds_write2_b64 v172, v[52:53], v[62:63] offset1:3
	ds_write_b64 v172, v[158:159] offset:48
	;; [unrolled: 2-line block ×9, first 2 shown]
	v_mov_b32_e32 v24, 57
	v_mul_lo_u16_sdwa v25, v180, v24 dst_sel:DWORD dst_unused:UNUSED_PAD src0_sel:BYTE_0 src1_sel:DWORD
	v_lshrrev_b16_e32 v148, 9, v25
	v_mul_lo_u16_e32 v25, 9, v148
	v_sub_u16_e32 v149, v180, v25
	v_mov_b32_e32 v25, 9
	v_mul_u32_u24_sdwa v26, v149, v25 dst_sel:DWORD dst_unused:UNUSED_PAD src0_sel:BYTE_0 src1_sel:DWORD
	v_lshlrev_b32_e32 v164, 4, v26
	s_waitcnt lgkmcnt(0)
	s_barrier
	global_load_dwordx4 v[52:55], v164, s[8:9] offset:144
	v_mul_lo_u16_sdwa v24, v181, v24 dst_sel:DWORD dst_unused:UNUSED_PAD src0_sel:BYTE_0 src1_sel:DWORD
	v_lshrrev_b16_e32 v158, 9, v24
	v_mul_lo_u16_e32 v24, 9, v158
	v_sub_u16_e32 v159, v181, v24
	v_mul_u32_u24_sdwa v24, v159, v25 dst_sel:DWORD dst_unused:UNUSED_PAD src0_sel:BYTE_0 src1_sel:DWORD
	v_lshlrev_b32_e32 v134, 4, v24
	global_load_dwordx4 v[60:63], v134, s[8:9] offset:144
	global_load_dwordx4 v[56:59], v164, s[8:9] offset:176
	;; [unrolled: 1-line block ×6, first 2 shown]
	s_mov_b32 s0, 0xe38f
	v_mul_u32_u24_sdwa v24, v152, s0 dst_sel:DWORD dst_unused:UNUSED_PAD src0_sel:WORD_0 src1_sel:DWORD
	v_lshrrev_b32_e32 v160, 19, v24
	v_mul_lo_u16_e32 v24, 9, v160
	v_sub_u16_e32 v161, v152, v24
	v_mul_u32_u24_e32 v24, 9, v161
	v_lshlrev_b32_e32 v165, 4, v24
	global_load_dwordx4 v[88:91], v165, s[8:9] offset:96
	global_load_dwordx4 v[84:87], v134, s[8:9] offset:112
	global_load_dwordx4 v[80:83], v165, s[8:9] offset:112
	global_load_dwordx4 v[92:95], v134, s[8:9] offset:128
	global_load_dwordx4 v[100:103], v165, s[8:9] offset:128
	global_load_dwordx4 v[96:99], v164, s[8:9] offset:160
	global_load_dwordx4 v[104:107], v165, s[8:9] offset:144
	global_load_dwordx4 v[108:111], v134, s[8:9] offset:160
	ds_read2_b64 v[130:133], v191 offset0:16 offset1:124
	ds_read2_b64 v[166:169], v200 offset0:24 offset1:132
	global_load_dwordx4 v[112:115], v165, s[8:9] offset:160
	global_load_dwordx4 v[216:219], v164, s[8:9] offset:224
	;; [unrolled: 1-line block ×7, first 2 shown]
	s_mov_b32 s0, 0x4755a5e
	s_mov_b32 s1, 0x3fe2cf23
	;; [unrolled: 1-line block ×3, first 2 shown]
	s_waitcnt vmcnt(21) lgkmcnt(1)
	v_mul_f64 v[128:129], v[130:131], v[54:55]
	v_mul_f64 v[136:137], v[44:45], v[54:55]
	v_fma_f64 v[140:141], v[44:45], v[52:53], -v[128:129]
	v_fmac_f64_e32 v[136:137], v[130:131], v[52:53]
	ds_read2_b64 v[52:55], v196 offset0:32 offset1:140
	s_waitcnt vmcnt(20)
	v_mul_f64 v[44:45], v[132:133], v[62:63]
	v_fma_f64 v[130:131], v[46:47], v[60:61], -v[44:45]
	s_waitcnt vmcnt(19) lgkmcnt(1)
	v_mul_f64 v[44:45], v[166:167], v[58:59]
	v_mul_f64 v[128:129], v[46:47], v[62:63]
	v_fma_f64 v[144:145], v[48:49], v[56:57], -v[44:45]
	s_waitcnt vmcnt(18)
	v_mul_f64 v[44:45], v[168:169], v[78:79]
	v_fmac_f64_e32 v[128:129], v[132:133], v[60:61]
	v_fma_f64 v[132:133], v[50:51], v[76:77], -v[44:45]
	s_waitcnt vmcnt(17) lgkmcnt(0)
	v_mul_f64 v[44:45], v[52:53], v[74:75]
	v_mul_f64 v[142:143], v[40:41], v[74:75]
	v_fma_f64 v[146:147], v[40:41], v[72:73], -v[44:45]
	global_load_dwordx4 v[44:47], v134, s[8:9] offset:224
	v_fmac_f64_e32 v[142:143], v[52:53], v[72:73]
	ds_read2_b64 v[72:75], v163 offset0:48 offset1:156
	v_mul_f64 v[138:139], v[48:49], v[58:59]
	v_mul_f64 v[78:79], v[50:51], v[78:79]
	v_fmac_f64_e32 v[138:139], v[166:167], v[56:57]
	v_fmac_f64_e32 v[78:79], v[168:169], v[76:77]
	global_load_dwordx4 v[166:169], v165, s[8:9] offset:208
	s_waitcnt vmcnt(18)
	v_mul_f64 v[40:41], v[54:55], v[70:71]
	v_fma_f64 v[134:135], v[42:43], v[68:69], -v[40:41]
	global_load_dwordx4 v[48:51], v164, s[8:9] offset:96
	s_waitcnt vmcnt(18) lgkmcnt(0)
	v_mul_f64 v[40:41], v[72:73], v[66:67]
	v_mul_f64 v[60:61], v[36:37], v[66:67]
	v_fma_f64 v[58:59], v[36:37], v[64:65], -v[40:41]
	v_fmac_f64_e32 v[60:61], v[72:73], v[64:65]
	ds_read2_b64 v[62:65], v162 offset0:116 offset1:224
	v_mul_f64 v[70:71], v[42:43], v[70:71]
	global_load_dwordx4 v[40:43], v165, s[8:9] offset:224
	s_waitcnt vmcnt(18)
	v_mul_f64 v[36:37], v[74:75], v[90:91]
	v_fmac_f64_e32 v[70:71], v[54:55], v[68:69]
	v_fma_f64 v[52:53], v[38:39], v[88:89], -v[36:37]
	v_mul_f64 v[54:55], v[38:39], v[90:91]
	s_waitcnt vmcnt(17) lgkmcnt(0)
	v_mul_f64 v[36:37], v[62:63], v[86:87]
	v_fmac_f64_e32 v[54:55], v[74:75], v[88:89]
	v_fma_f64 v[88:89], v[32:33], v[84:85], -v[36:37]
	global_load_dwordx4 v[36:39], v164, s[8:9] offset:112
	ds_read2_b64 v[72:75], v184 offset0:56 offset1:164
	v_mul_f64 v[76:77], v[32:33], v[86:87]
	s_waitcnt vmcnt(17)
	v_mul_f64 v[32:33], v[64:65], v[82:83]
	v_fma_f64 v[56:57], v[34:35], v[80:81], -v[32:33]
	v_mul_f64 v[34:35], v[34:35], v[82:83]
	v_fmac_f64_e32 v[34:35], v[64:65], v[80:81]
	s_waitcnt vmcnt(16) lgkmcnt(0)
	v_mul_f64 v[32:33], v[72:73], v[94:95]
	v_mul_f64 v[64:65], v[28:29], v[94:95]
	v_fma_f64 v[66:67], v[28:29], v[92:93], -v[32:33]
	v_fmac_f64_e32 v[64:65], v[72:73], v[92:93]
	ds_read2_b64 v[90:93], v195 offset0:104 offset1:212
	s_waitcnt vmcnt(15)
	v_mul_f64 v[28:29], v[74:75], v[102:103]
	s_waitcnt vmcnt(14)
	v_mul_f64 v[82:83], v[22:23], v[98:99]
	v_fma_f64 v[32:33], v[30:31], v[100:101], -v[28:29]
	v_mul_f64 v[28:29], v[30:31], v[102:103]
	s_waitcnt lgkmcnt(0)
	v_mul_f64 v[30:31], v[92:93], v[98:99]
	v_fmac_f64_e32 v[82:83], v[92:93], v[96:97]
	ds_read2_b64 v[92:95], v188 offset0:64 offset1:172
	v_fmac_f64_e32 v[76:77], v[62:63], v[84:85]
	v_fma_f64 v[84:85], v[22:23], v[96:97], -v[30:31]
	ds_read2_b64 v[96:99], v185 offset0:112 offset1:220
	s_waitcnt vmcnt(13)
	v_mul_f64 v[22:23], v[90:91], v[106:107]
	v_fma_f64 v[30:31], v[20:21], v[104:105], -v[22:23]
	v_mul_f64 v[22:23], v[20:21], v[106:107]
	s_waitcnt vmcnt(12) lgkmcnt(1)
	v_mul_f64 v[20:21], v[92:93], v[110:111]
	v_fma_f64 v[72:73], v[16:17], v[108:109], -v[20:21]
	v_mul_f64 v[68:69], v[16:17], v[110:111]
	s_waitcnt vmcnt(11)
	v_mul_f64 v[16:17], v[94:95], v[114:115]
	v_fma_f64 v[20:21], v[18:19], v[112:113], -v[16:17]
	v_mul_f64 v[16:17], v[18:19], v[114:115]
	s_waitcnt vmcnt(8) lgkmcnt(0)
	v_mul_f64 v[18:19], v[98:99], v[172:173]
	v_fmac_f64_e32 v[22:23], v[90:91], v[104:105]
	v_fmac_f64_e32 v[68:69], v[92:93], v[108:109]
	;; [unrolled: 1-line block ×3, first 2 shown]
	v_fma_f64 v[90:91], v[14:15], v[170:171], -v[18:19]
	v_mul_f64 v[86:87], v[14:15], v[172:173]
	ds_read2_b64 v[92:95], v192 offset0:72 offset1:180
	s_waitcnt vmcnt(7)
	v_mul_f64 v[14:15], v[96:97], v[176:177]
	v_fma_f64 v[18:19], v[12:13], v[174:175], -v[14:15]
	v_mul_f64 v[14:15], v[12:13], v[176:177]
	v_fmac_f64_e32 v[86:87], v[98:99], v[170:171]
	v_fmac_f64_e32 v[14:15], v[96:97], v[174:175]
	ds_read2_b64 v[96:99], v187 offset0:120 offset1:228
	s_waitcnt vmcnt(5) lgkmcnt(1)
	v_mul_f64 v[12:13], v[92:93], v[210:211]
	v_fmac_f64_e32 v[28:29], v[74:75], v[100:101]
	v_fma_f64 v[80:81], v[8:9], v[208:209], -v[12:13]
	v_mul_f64 v[74:75], v[8:9], v[210:211]
	v_mul_f64 v[8:9], v[94:95], v[214:215]
	v_fma_f64 v[12:13], v[10:11], v[212:213], -v[8:9]
	v_mul_f64 v[8:9], v[10:11], v[214:215]
	s_waitcnt lgkmcnt(0)
	v_mul_f64 v[10:11], v[98:99], v[218:219]
	v_fmac_f64_e32 v[74:75], v[92:93], v[208:209]
	v_fmac_f64_e32 v[8:9], v[94:95], v[212:213]
	v_fma_f64 v[94:95], v[6:7], v[216:217], -v[10:11]
	v_mul_f64 v[92:93], v[6:7], v[218:219]
	v_fmac_f64_e32 v[92:93], v[98:99], v[216:217]
	s_waitcnt vmcnt(3)
	v_mul_f64 v[6:7], v[96:97], v[168:169]
	v_mul_f64 v[10:11], v[4:5], v[168:169]
	v_fma_f64 v[62:63], v[4:5], v[166:167], -v[6:7]
	v_fmac_f64_e32 v[10:11], v[96:97], v[166:167]
	ds_read_b64 v[98:99], v202
	ds_read2_b64 v[4:7], v199 offset0:80 offset1:188
	ds_read_b64 v[96:97], v183
	ds_read_b64 v[100:101], v186
	;; [unrolled: 1-line block ×3, first 2 shown]
	s_waitcnt vmcnt(2) lgkmcnt(4)
	v_mul_f64 v[104:105], v[98:99], v[50:51]
	v_mul_f64 v[50:51], v[126:127], v[50:51]
	v_fma_f64 v[108:109], v[126:127], v[48:49], -v[104:105]
	v_fmac_f64_e32 v[50:51], v[98:99], v[48:49]
	s_waitcnt lgkmcnt(3)
	v_mul_f64 v[48:49], v[4:5], v[46:47]
	v_mul_f64 v[104:105], v[0:1], v[46:47]
	v_fma_f64 v[106:107], v[0:1], v[44:45], -v[48:49]
	v_fmac_f64_e32 v[104:105], v[4:5], v[44:45]
	s_waitcnt vmcnt(1)
	v_mul_f64 v[0:1], v[6:7], v[42:43]
	ds_read_b64 v[44:45], v205
	v_fma_f64 v[4:5], v[2:3], v[40:41], -v[0:1]
	v_mul_f64 v[0:1], v[2:3], v[42:43]
	ds_read_b64 v[2:3], v206
	v_fmac_f64_e32 v[0:1], v[6:7], v[40:41]
	s_waitcnt vmcnt(0) lgkmcnt(1)
	v_mul_f64 v[6:7], v[44:45], v[38:39]
	v_mul_f64 v[38:39], v[124:125], v[38:39]
	v_fma_f64 v[6:7], v[124:125], v[36:37], -v[6:7]
	v_fmac_f64_e32 v[38:39], v[44:45], v[36:37]
	s_waitcnt lgkmcnt(0)
	v_mul_f64 v[36:37], v[2:3], v[26:27]
	v_mul_f64 v[26:27], v[122:123], v[26:27]
	v_fmac_f64_e32 v[26:27], v[2:3], v[24:25]
	v_add_f64 v[2:3], v[140:141], v[144:145]
	v_fma_f64 v[36:37], v[122:123], v[24:25], -v[36:37]
	v_fma_f64 v[46:47], -0.5, v[2:3], v[120:121]
	v_add_f64 v[2:3], v[6:7], -v[140:141]
	v_add_f64 v[24:25], v[146:147], -v[144:145]
	v_add_f64 v[2:3], v[2:3], v[24:25]
	v_add_f64 v[24:25], v[38:39], -v[142:143]
	v_fma_f64 v[40:41], s[12:13], v[24:25], v[46:47]
	v_add_f64 v[42:43], v[136:137], -v[138:139]
	v_fmac_f64_e32 v[46:47], s[20:21], v[24:25]
	v_fmac_f64_e32 v[40:41], s[0:1], v[42:43]
	v_fmac_f64_e32 v[46:47], s[14:15], v[42:43]
	v_add_f64 v[44:45], v[6:7], v[146:147]
	v_fmac_f64_e32 v[40:41], s[18:19], v[2:3]
	v_fmac_f64_e32 v[46:47], s[18:19], v[2:3]
	v_add_f64 v[2:3], v[120:121], v[6:7]
	v_fmac_f64_e32 v[120:121], -0.5, v[44:45]
	v_add_f64 v[44:45], v[140:141], -v[6:7]
	v_add_f64 v[48:49], v[144:145], -v[146:147]
	v_add_f64 v[44:45], v[44:45], v[48:49]
	v_fma_f64 v[48:49], s[20:21], v[42:43], v[120:121]
	v_fmac_f64_e32 v[120:121], s[12:13], v[42:43]
	v_fmac_f64_e32 v[48:49], s[0:1], v[24:25]
	;; [unrolled: 1-line block ×5, first 2 shown]
	v_add_f64 v[2:3], v[2:3], v[140:141]
	v_add_f64 v[24:25], v[38:39], -v[136:137]
	v_add_f64 v[44:45], v[142:143], -v[138:139]
	v_add_f64 v[2:3], v[2:3], v[144:145]
	v_add_f64 v[24:25], v[24:25], v[44:45]
	;; [unrolled: 1-line block ×4, first 2 shown]
	v_add_f64 v[2:3], v[6:7], -v[146:147]
	v_fma_f64 v[110:111], -0.5, v[44:45], v[96:97]
	v_add_f64 v[6:7], v[140:141], -v[144:145]
	v_fma_f64 v[98:99], s[20:21], v[2:3], v[110:111]
	v_fmac_f64_e32 v[110:111], s[12:13], v[2:3]
	v_fmac_f64_e32 v[98:99], s[14:15], v[6:7]
	;; [unrolled: 1-line block ×5, first 2 shown]
	v_add_f64 v[24:25], v[96:97], v[38:39]
	v_add_f64 v[44:45], v[38:39], v[142:143]
	v_fmac_f64_e32 v[96:97], -0.5, v[44:45]
	v_add_f64 v[24:25], v[24:25], v[136:137]
	v_add_f64 v[24:25], v[24:25], v[138:139]
	v_fma_f64 v[114:115], s[12:13], v[6:7], v[96:97]
	v_fmac_f64_e32 v[96:97], s[20:21], v[6:7]
	v_add_f64 v[38:39], v[136:137], -v[38:39]
	v_add_f64 v[112:113], v[24:25], v[142:143]
	v_add_f64 v[24:25], v[138:139], -v[142:143]
	v_fmac_f64_e32 v[114:115], s[14:15], v[2:3]
	v_fmac_f64_e32 v[96:97], s[0:1], v[2:3]
	v_add_f64 v[2:3], v[36:37], -v[84:85]
	v_add_f64 v[6:7], v[94:95], -v[90:91]
	v_add_f64 v[24:25], v[38:39], v[24:25]
	v_add_f64 v[2:3], v[2:3], v[6:7]
	;; [unrolled: 1-line block ×3, first 2 shown]
	v_fmac_f64_e32 v[114:115], s[18:19], v[24:25]
	v_fmac_f64_e32 v[96:97], s[18:19], v[24:25]
	v_fma_f64 v[6:7], -0.5, v[6:7], v[108:109]
	v_add_f64 v[24:25], v[26:27], -v[92:93]
	v_fma_f64 v[38:39], s[12:13], v[24:25], v[6:7]
	v_add_f64 v[44:45], v[82:83], -v[86:87]
	v_fmac_f64_e32 v[6:7], s[20:21], v[24:25]
	v_fmac_f64_e32 v[38:39], s[0:1], v[44:45]
	;; [unrolled: 1-line block ×5, first 2 shown]
	v_add_f64 v[2:3], v[108:109], v[36:37]
	v_add_f64 v[122:123], v[36:37], v[94:95]
	v_fmac_f64_e32 v[108:109], -0.5, v[122:123]
	v_add_f64 v[122:123], v[84:85], -v[36:37]
	v_add_f64 v[124:125], v[90:91], -v[94:95]
	v_add_f64 v[2:3], v[2:3], v[84:85]
	v_add_f64 v[122:123], v[122:123], v[124:125]
	v_fma_f64 v[124:125], s[20:21], v[44:45], v[108:109]
	v_fmac_f64_e32 v[108:109], s[12:13], v[44:45]
	v_add_f64 v[2:3], v[2:3], v[90:91]
	v_fmac_f64_e32 v[124:125], s[0:1], v[24:25]
	v_fmac_f64_e32 v[108:109], s[14:15], v[24:25]
	v_add_f64 v[44:45], v[2:3], v[94:95]
	v_add_f64 v[2:3], v[36:37], -v[94:95]
	v_add_f64 v[24:25], v[84:85], -v[90:91]
	;; [unrolled: 1-line block ×4, first 2 shown]
	v_add_f64 v[36:37], v[36:37], v[84:85]
	v_add_f64 v[84:85], v[82:83], v[86:87]
	v_fma_f64 v[84:85], -0.5, v[84:85], v[50:51]
	v_fma_f64 v[90:91], s[20:21], v[2:3], v[84:85]
	v_fmac_f64_e32 v[84:85], s[12:13], v[2:3]
	v_fmac_f64_e32 v[90:91], s[14:15], v[24:25]
	;; [unrolled: 1-line block ×5, first 2 shown]
	v_add_f64 v[36:37], v[50:51], v[26:27]
	v_add_f64 v[36:37], v[36:37], v[82:83]
	;; [unrolled: 1-line block ×4, first 2 shown]
	v_fmac_f64_e32 v[50:51], -0.5, v[94:95]
	v_add_f64 v[26:27], v[82:83], -v[26:27]
	v_add_f64 v[94:95], v[36:37], v[92:93]
	v_add_f64 v[36:37], v[86:87], -v[92:93]
	v_add_f64 v[26:27], v[26:27], v[36:37]
	v_fma_f64 v[36:37], s[12:13], v[24:25], v[50:51]
	v_fmac_f64_e32 v[50:51], s[20:21], v[24:25]
	v_fmac_f64_e32 v[108:109], s[18:19], v[122:123]
	;; [unrolled: 1-line block ×4, first 2 shown]
	v_mul_f64 v[24:25], v[108:109], s[18:19]
	v_fmac_f64_e32 v[36:37], s[14:15], v[2:3]
	v_fma_f64 v[82:83], v[50:51], s[12:13], -v[24:25]
	v_mul_f64 v[24:25], v[50:51], s[18:19]
	v_fmac_f64_e32 v[36:37], s[18:19], v[26:27]
	v_mul_f64 v[26:27], v[90:91], s[0:1]
	v_fma_f64 v[108:109], v[108:109], s[20:21], -v[24:25]
	v_mul_f64 v[24:25], v[6:7], s[22:23]
	v_fmac_f64_e32 v[124:125], s[18:19], v[122:123]
	v_fmac_f64_e32 v[26:27], s[22:23], v[38:39]
	v_mul_f64 v[92:93], v[38:39], s[14:15]
	v_mul_f64 v[38:39], v[36:37], s[12:13]
	v_fma_f64 v[50:51], v[84:85], s[0:1], -v[24:25]
	v_mul_f64 v[24:25], v[84:85], s[22:23]
	v_fmac_f64_e32 v[92:93], s[22:23], v[90:91]
	v_fmac_f64_e32 v[38:39], s[18:19], v[124:125]
	v_mul_f64 v[90:91], v[124:125], s[20:21]
	v_fma_f64 v[122:123], v[6:7], s[14:15], -v[24:25]
	v_add_f64 v[2:3], v[42:43], v[44:45]
	v_fmac_f64_e32 v[90:91], s[18:19], v[36:37]
	v_add_f64 v[24:25], v[40:41], v[26:27]
	v_add_f64 v[6:7], v[42:43], -v[44:45]
	v_add_f64 v[36:37], v[48:49], v[38:39]
	v_add_f64 v[26:27], v[40:41], -v[26:27]
	v_add_f64 v[40:41], v[120:121], v[82:83]
	v_add_f64 v[38:39], v[48:49], -v[38:39]
	v_add_f64 v[44:45], v[46:47], v[50:51]
	v_add_f64 v[42:43], v[120:121], -v[82:83]
	v_add_f64 v[48:49], v[112:113], v[94:95]
	v_add_f64 v[46:47], v[46:47], -v[50:51]
	v_add_f64 v[82:83], v[98:99], v[92:93]
	v_add_f64 v[50:51], v[112:113], -v[94:95]
	v_add_f64 v[84:85], v[98:99], -v[92:93]
	v_add_f64 v[92:93], v[96:97], v[108:109]
	v_add_f64 v[98:99], v[110:111], v[122:123]
	v_add_f64 v[94:95], v[96:97], -v[108:109]
	v_add_f64 v[96:97], v[110:111], -v[122:123]
	;; [unrolled: 1-line block ×4, first 2 shown]
	v_add_f64 v[108:109], v[108:109], v[110:111]
	v_add_f64 v[110:111], v[130:131], v[132:133]
	v_fma_f64 v[122:123], -0.5, v[110:111], v[118:119]
	v_add_f64 v[110:111], v[76:77], -v[70:71]
	v_add_f64 v[86:87], v[114:115], v[90:91]
	v_add_f64 v[90:91], v[114:115], -v[90:91]
	v_fma_f64 v[112:113], s[12:13], v[110:111], v[122:123]
	v_add_f64 v[114:115], v[128:129], -v[78:79]
	v_fmac_f64_e32 v[122:123], s[20:21], v[110:111]
	v_fmac_f64_e32 v[112:113], s[0:1], v[114:115]
	;; [unrolled: 1-line block ×3, first 2 shown]
	v_add_f64 v[120:121], v[88:89], v[134:135]
	v_fmac_f64_e32 v[112:113], s[18:19], v[108:109]
	v_fmac_f64_e32 v[122:123], s[18:19], v[108:109]
	v_add_f64 v[108:109], v[118:119], v[88:89]
	v_fmac_f64_e32 v[118:119], -0.5, v[120:121]
	v_add_f64 v[120:121], v[130:131], -v[88:89]
	v_add_f64 v[124:125], v[132:133], -v[134:135]
	v_add_f64 v[120:121], v[120:121], v[124:125]
	v_fma_f64 v[124:125], s[20:21], v[114:115], v[118:119]
	v_fmac_f64_e32 v[118:119], s[12:13], v[114:115]
	v_fmac_f64_e32 v[124:125], s[0:1], v[110:111]
	;; [unrolled: 1-line block ×5, first 2 shown]
	v_add_f64 v[114:115], v[76:77], -v[128:129]
	v_add_f64 v[120:121], v[70:71], -v[78:79]
	v_add_f64 v[114:115], v[114:115], v[120:121]
	v_add_f64 v[120:121], v[128:129], v[78:79]
	v_add_f64 v[88:89], v[88:89], -v[134:135]
	v_fma_f64 v[126:127], -0.5, v[120:121], v[100:101]
	v_add_f64 v[108:109], v[108:109], v[130:131]
	v_add_f64 v[110:111], v[130:131], -v[132:133]
	v_fma_f64 v[130:131], s[20:21], v[88:89], v[126:127]
	v_fmac_f64_e32 v[126:127], s[12:13], v[88:89]
	v_fmac_f64_e32 v[130:131], s[14:15], v[110:111]
	;; [unrolled: 1-line block ×5, first 2 shown]
	v_add_f64 v[114:115], v[100:101], v[76:77]
	v_add_f64 v[114:115], v[114:115], v[128:129]
	;; [unrolled: 1-line block ×4, first 2 shown]
	v_fmac_f64_e32 v[100:101], -0.5, v[120:121]
	v_add_f64 v[76:77], v[128:129], -v[76:77]
	v_add_f64 v[128:129], v[114:115], v[70:71]
	v_add_f64 v[70:71], v[78:79], -v[70:71]
	v_add_f64 v[70:71], v[76:77], v[70:71]
	v_fma_f64 v[76:77], s[12:13], v[110:111], v[100:101]
	v_fmac_f64_e32 v[100:101], s[20:21], v[110:111]
	v_fmac_f64_e32 v[76:77], s[14:15], v[88:89]
	;; [unrolled: 1-line block ×5, first 2 shown]
	v_add_f64 v[70:71], v[66:67], -v[72:73]
	v_add_f64 v[78:79], v[106:107], -v[80:81]
	v_add_f64 v[70:71], v[70:71], v[78:79]
	v_add_f64 v[78:79], v[72:73], v[80:81]
	v_fma_f64 v[78:79], -0.5, v[78:79], v[58:59]
	v_add_f64 v[88:89], v[64:65], -v[104:105]
	v_fma_f64 v[110:111], s[12:13], v[88:89], v[78:79]
	v_add_f64 v[114:115], v[68:69], -v[74:75]
	v_fmac_f64_e32 v[78:79], s[20:21], v[88:89]
	v_fmac_f64_e32 v[110:111], s[0:1], v[114:115]
	;; [unrolled: 1-line block ×3, first 2 shown]
	v_add_f64 v[120:121], v[66:67], v[106:107]
	v_add_f64 v[108:109], v[108:109], v[132:133]
	v_fmac_f64_e32 v[110:111], s[18:19], v[70:71]
	v_fmac_f64_e32 v[78:79], s[18:19], v[70:71]
	v_add_f64 v[70:71], v[58:59], v[66:67]
	v_fmac_f64_e32 v[58:59], -0.5, v[120:121]
	v_add_f64 v[120:121], v[72:73], -v[66:67]
	v_add_f64 v[132:133], v[80:81], -v[106:107]
	v_add_f64 v[120:121], v[120:121], v[132:133]
	v_fma_f64 v[132:133], s[20:21], v[114:115], v[58:59]
	v_fmac_f64_e32 v[58:59], s[12:13], v[114:115]
	v_add_f64 v[70:71], v[70:71], v[72:73]
	v_fmac_f64_e32 v[132:133], s[0:1], v[88:89]
	v_fmac_f64_e32 v[58:59], s[14:15], v[88:89]
	v_add_f64 v[70:71], v[70:71], v[80:81]
	v_add_f64 v[72:73], v[72:73], -v[80:81]
	v_add_f64 v[80:81], v[64:65], -v[68:69]
	;; [unrolled: 1-line block ×3, first 2 shown]
	v_add_f64 v[80:81], v[80:81], v[88:89]
	v_add_f64 v[88:89], v[68:69], v[74:75]
	v_add_f64 v[66:67], v[66:67], -v[106:107]
	v_fma_f64 v[88:89], -0.5, v[88:89], v[60:61]
	v_add_f64 v[70:71], v[70:71], v[106:107]
	v_fma_f64 v[106:107], s[20:21], v[66:67], v[88:89]
	v_fmac_f64_e32 v[88:89], s[12:13], v[66:67]
	v_fmac_f64_e32 v[106:107], s[14:15], v[72:73]
	;; [unrolled: 1-line block ×5, first 2 shown]
	v_add_f64 v[80:81], v[60:61], v[64:65]
	v_add_f64 v[114:115], v[64:65], v[104:105]
	;; [unrolled: 1-line block ×3, first 2 shown]
	v_fmac_f64_e32 v[60:61], -0.5, v[114:115]
	v_add_f64 v[64:65], v[68:69], -v[64:65]
	v_add_f64 v[68:69], v[80:81], v[74:75]
	v_add_f64 v[74:75], v[74:75], -v[104:105]
	v_add_f64 v[64:65], v[64:65], v[74:75]
	v_fma_f64 v[74:75], s[12:13], v[72:73], v[60:61]
	v_fmac_f64_e32 v[74:75], s[14:15], v[66:67]
	v_fmac_f64_e32 v[60:61], s[20:21], v[72:73]
	;; [unrolled: 1-line block ×5, first 2 shown]
	v_mul_f64 v[66:67], v[74:75], s[12:13]
	v_fmac_f64_e32 v[58:59], s[18:19], v[120:121]
	v_fmac_f64_e32 v[66:67], s[18:19], v[132:133]
	v_mul_f64 v[132:133], v[132:133], s[20:21]
	v_fmac_f64_e32 v[60:61], s[18:19], v[64:65]
	v_fmac_f64_e32 v[132:133], s[18:19], v[74:75]
	v_mul_f64 v[74:75], v[58:59], s[18:19]
	v_fma_f64 v[74:75], v[60:61], s[12:13], -v[74:75]
	v_mul_f64 v[60:61], v[60:61], s[18:19]
	v_add_f64 v[108:109], v[108:109], v[134:135]
	v_mul_f64 v[64:65], v[106:107], s[0:1]
	v_mul_f64 v[72:73], v[110:111], s[14:15]
	v_fma_f64 v[134:135], v[58:59], s[20:21], -v[60:61]
	v_mul_f64 v[58:59], v[78:79], s[22:23]
	v_fmac_f64_e32 v[64:65], s[22:23], v[110:111]
	v_fmac_f64_e32 v[72:73], s[22:23], v[106:107]
	v_fma_f64 v[58:59], v[88:89], s[0:1], -v[58:59]
	v_add_f64 v[68:69], v[68:69], v[104:105]
	v_mul_f64 v[60:61], v[88:89], s[22:23]
	v_add_f64 v[88:89], v[108:109], v[70:71]
	v_add_f64 v[80:81], v[108:109], -v[70:71]
	v_add_f64 v[106:107], v[112:113], v[64:65]
	v_add_f64 v[104:105], v[112:113], -v[64:65]
	;; [unrolled: 2-line block ×7, first 2 shown]
	v_add_f64 v[100:101], v[56:57], -v[30:31]
	v_add_f64 v[122:123], v[62:63], -v[18:19]
	v_add_f64 v[100:101], v[100:101], v[122:123]
	v_add_f64 v[122:123], v[30:31], v[18:19]
	v_fma_f64 v[136:137], v[78:79], s[14:15], -v[60:61]
	v_fma_f64 v[122:123], -0.5, v[122:123], v[116:117]
	v_add_f64 v[124:125], v[34:35], -v[10:11]
	v_add_f64 v[60:61], v[128:129], v[68:69]
	v_add_f64 v[58:59], v[128:129], -v[68:69]
	v_add_f64 v[70:71], v[76:77], v[132:133]
	;; [unrolled: 2-line block ×3, first 2 shown]
	v_add_f64 v[76:77], v[126:127], -v[136:137]
	v_fma_f64 v[126:127], s[12:13], v[124:125], v[122:123]
	v_add_f64 v[128:129], v[22:23], -v[14:15]
	v_fmac_f64_e32 v[122:123], s[20:21], v[124:125]
	v_fmac_f64_e32 v[126:127], s[0:1], v[128:129]
	;; [unrolled: 1-line block ×5, first 2 shown]
	v_add_f64 v[100:101], v[116:117], v[56:57]
	v_add_f64 v[100:101], v[100:101], v[30:31]
	;; [unrolled: 1-line block ×4, first 2 shown]
	v_fmac_f64_e32 v[116:117], -0.5, v[130:131]
	v_add_f64 v[130:131], v[30:31], -v[56:57]
	v_add_f64 v[132:133], v[18:19], -v[62:63]
	v_add_f64 v[100:101], v[100:101], v[62:63]
	v_add_f64 v[56:57], v[56:57], -v[62:63]
	v_add_f64 v[18:19], v[30:31], -v[18:19]
	v_add_f64 v[30:31], v[34:35], -v[22:23]
	v_add_f64 v[62:63], v[10:11], -v[14:15]
	v_add_f64 v[30:31], v[30:31], v[62:63]
	v_add_f64 v[62:63], v[22:23], v[14:15]
	;; [unrolled: 1-line block ×3, first 2 shown]
	v_fma_f64 v[132:133], s[20:21], v[128:129], v[116:117]
	v_fmac_f64_e32 v[116:117], s[12:13], v[128:129]
	v_fma_f64 v[62:63], -0.5, v[62:63], v[102:103]
	v_fmac_f64_e32 v[132:133], s[0:1], v[124:125]
	v_fmac_f64_e32 v[116:117], s[14:15], v[124:125]
	v_fma_f64 v[124:125], s[20:21], v[56:57], v[62:63]
	v_fmac_f64_e32 v[62:63], s[12:13], v[56:57]
	v_fmac_f64_e32 v[124:125], s[14:15], v[18:19]
	;; [unrolled: 1-line block ×5, first 2 shown]
	v_add_f64 v[30:31], v[102:103], v[34:35]
	v_add_f64 v[128:129], v[34:35], v[10:11]
	;; [unrolled: 1-line block ×3, first 2 shown]
	v_fmac_f64_e32 v[102:103], -0.5, v[128:129]
	v_add_f64 v[30:31], v[30:31], v[14:15]
	v_add_f64 v[22:23], v[22:23], -v[34:35]
	v_add_f64 v[30:31], v[30:31], v[10:11]
	v_add_f64 v[10:11], v[14:15], -v[10:11]
	v_fma_f64 v[14:15], s[12:13], v[18:19], v[102:103]
	v_fmac_f64_e32 v[102:103], s[20:21], v[18:19]
	v_add_f64 v[10:11], v[22:23], v[10:11]
	v_fmac_f64_e32 v[14:15], s[14:15], v[56:57]
	v_fmac_f64_e32 v[102:103], s[0:1], v[56:57]
	;; [unrolled: 1-line block ×4, first 2 shown]
	v_add_f64 v[10:11], v[32:33], -v[20:21]
	v_add_f64 v[18:19], v[4:5], -v[12:13]
	v_add_f64 v[10:11], v[10:11], v[18:19]
	v_add_f64 v[18:19], v[20:21], v[12:13]
	v_fma_f64 v[18:19], -0.5, v[18:19], v[52:53]
	v_add_f64 v[22:23], v[28:29], -v[0:1]
	v_fma_f64 v[34:35], s[12:13], v[22:23], v[18:19]
	v_add_f64 v[56:57], v[16:17], -v[8:9]
	v_fmac_f64_e32 v[18:19], s[20:21], v[22:23]
	v_fmac_f64_e32 v[34:35], s[0:1], v[56:57]
	;; [unrolled: 1-line block ×3, first 2 shown]
	v_add_f64 v[128:129], v[32:33], v[4:5]
	v_fmac_f64_e32 v[132:133], s[18:19], v[130:131]
	v_fmac_f64_e32 v[116:117], s[18:19], v[130:131]
	;; [unrolled: 1-line block ×4, first 2 shown]
	v_add_f64 v[10:11], v[52:53], v[32:33]
	v_fmac_f64_e32 v[52:53], -0.5, v[128:129]
	v_add_f64 v[128:129], v[20:21], -v[32:33]
	v_add_f64 v[130:131], v[12:13], -v[4:5]
	v_add_f64 v[128:129], v[128:129], v[130:131]
	v_fma_f64 v[130:131], s[20:21], v[56:57], v[52:53]
	v_fmac_f64_e32 v[52:53], s[12:13], v[56:57]
	v_add_f64 v[10:11], v[10:11], v[20:21]
	v_fmac_f64_e32 v[130:131], s[0:1], v[22:23]
	v_fmac_f64_e32 v[52:53], s[14:15], v[22:23]
	v_add_f64 v[10:11], v[10:11], v[12:13]
	v_add_f64 v[12:13], v[20:21], -v[12:13]
	v_add_f64 v[20:21], v[28:29], -v[16:17]
	;; [unrolled: 1-line block ×3, first 2 shown]
	v_add_f64 v[20:21], v[20:21], v[22:23]
	v_add_f64 v[22:23], v[16:17], v[8:9]
	;; [unrolled: 1-line block ×3, first 2 shown]
	v_add_f64 v[4:5], v[32:33], -v[4:5]
	v_fma_f64 v[22:23], -0.5, v[22:23], v[54:55]
	v_fma_f64 v[32:33], s[20:21], v[4:5], v[22:23]
	v_fmac_f64_e32 v[22:23], s[12:13], v[4:5]
	v_fmac_f64_e32 v[32:33], s[14:15], v[12:13]
	;; [unrolled: 1-line block ×5, first 2 shown]
	v_add_f64 v[20:21], v[54:55], v[28:29]
	v_add_f64 v[56:57], v[28:29], v[0:1]
	;; [unrolled: 1-line block ×3, first 2 shown]
	v_fmac_f64_e32 v[54:55], -0.5, v[56:57]
	v_add_f64 v[20:21], v[20:21], v[8:9]
	v_add_f64 v[16:17], v[16:17], -v[28:29]
	v_add_f64 v[20:21], v[20:21], v[0:1]
	v_add_f64 v[0:1], v[8:9], -v[0:1]
	v_fma_f64 v[8:9], s[12:13], v[12:13], v[54:55]
	v_add_f64 v[0:1], v[16:17], v[0:1]
	v_fmac_f64_e32 v[54:55], s[20:21], v[12:13]
	v_fmac_f64_e32 v[8:9], s[14:15], v[4:5]
	;; [unrolled: 1-line block ×4, first 2 shown]
	v_mul_f64 v[4:5], v[34:35], s[14:15]
	v_fmac_f64_e32 v[130:131], s[18:19], v[128:129]
	v_fmac_f64_e32 v[4:5], s[22:23], v[32:33]
	v_mul_f64 v[12:13], v[8:9], s[12:13]
	v_fmac_f64_e32 v[52:53], s[18:19], v[128:129]
	v_fmac_f64_e32 v[12:13], s[18:19], v[130:131]
	v_mul_f64 v[16:17], v[130:131], s[20:21]
	v_add_f64 v[128:129], v[124:125], v[4:5]
	v_add_f64 v[130:131], v[124:125], -v[4:5]
	v_mul_u32_u24_e32 v4, 0x2d0, v148
	v_lshlrev_b32_sdwa v5, v156, v149 dst_sel:DWORD dst_unused:UNUSED_PAD src0_sel:DWORD src1_sel:BYTE_0
	v_add3_u32 v142, 0, v4, v5
	v_fmac_f64_e32 v[54:55], s[18:19], v[0:1]
	v_mul_f64 v[0:1], v[32:33], s[0:1]
	v_fmac_f64_e32 v[16:17], s[18:19], v[8:9]
	v_mul_f64 v[8:9], v[52:53], s[18:19]
	v_mul_f64 v[32:33], v[18:19], s[22:23]
	s_barrier
	ds_write2_b64 v142, v[2:3], v[24:25] offset1:9
	ds_write2_b64 v142, v[36:37], v[40:41] offset0:18 offset1:27
	ds_write2_b64 v142, v[44:45], v[6:7] offset0:36 offset1:45
	;; [unrolled: 1-line block ×4, first 2 shown]
	v_mul_u32_u24_e32 v2, 0x2d0, v158
	v_lshlrev_b32_sdwa v3, v156, v159 dst_sel:DWORD dst_unused:UNUSED_PAD src0_sel:DWORD src1_sel:BYTE_0
	v_fmac_f64_e32 v[0:1], s[22:23], v[34:35]
	v_fma_f64 v[8:9], v[54:55], s[12:13], -v[8:9]
	v_mul_f64 v[28:29], v[54:55], s[18:19]
	v_fma_f64 v[32:33], v[22:23], s[0:1], -v[32:33]
	v_mul_f64 v[22:23], v[22:23], s[22:23]
	v_add3_u32 v143, 0, v2, v3
	v_mul_u32_u24_e32 v2, 0x2d0, v160
	v_lshlrev_b32_e32 v3, 3, v161
	v_fma_f64 v[28:29], v[52:53], s[20:21], -v[28:29]
	v_fma_f64 v[18:19], v[18:19], s[14:15], -v[22:23]
	v_add_f64 v[22:23], v[100:101], v[10:11]
	v_add_f64 v[10:11], v[100:101], -v[10:11]
	v_add_f64 v[34:35], v[126:127], v[0:1]
	v_add_f64 v[0:1], v[126:127], -v[0:1]
	;; [unrolled: 2-line block ×5, first 2 shown]
	ds_write2_b64 v143, v[88:89], v[106:107] offset1:9
	ds_write2_b64 v143, v[110:111], v[114:115] offset0:18 offset1:27
	ds_write2_b64 v143, v[120:121], v[80:81] offset0:36 offset1:45
	;; [unrolled: 1-line block ×4, first 2 shown]
	v_add3_u32 v80, 0, v2, v3
	v_add_u32_e32 v136, 0x1000, v183
	v_add_u32_e32 v137, 0x1800, v183
	s_movk_i32 s0, 0x5a
	v_add_f64 v[100:101], v[30:31], v[20:21]
	v_add_f64 v[126:127], v[30:31], -v[20:21]
	v_add_f64 v[132:133], v[14:15], v[16:17]
	v_add_f64 v[134:135], v[14:15], -v[16:17]
	;; [unrolled: 2-line block ×4, first 2 shown]
	ds_write2_b64 v80, v[22:23], v[34:35] offset1:9
	ds_write2_b64 v80, v[52:53], v[54:55] offset0:18 offset1:27
	ds_write2_b64 v80, v[56:57], v[10:11] offset0:36 offset1:45
	ds_write2_b64 v80, v[0:1], v[12:13] offset0:54 offset1:63
	ds_write2_b64 v80, v[8:9], v[32:33] offset0:72 offset1:81
	s_waitcnt lgkmcnt(0)
	s_barrier
	ds_read2_b64 v[44:47], v184 offset0:56 offset1:164
	ds_read2_b64 v[8:11], v195 offset0:104 offset1:212
	;; [unrolled: 1-line block ×9, first 2 shown]
	ds_read_b64 v[122:123], v183
	ds_read_b64 v[118:119], v186
	;; [unrolled: 1-line block ×4, first 2 shown]
	ds_read2_b64 v[16:19], v137 offset0:96 offset1:204
	ds_read2_b64 v[12:15], v200 offset0:24 offset1:132
	;; [unrolled: 1-line block ×3, first 2 shown]
	ds_read_b64 v[124:125], v203
	ds_read_b64 v[112:113], v201
	s_waitcnt lgkmcnt(0)
	s_barrier
	ds_write2_b64 v142, v[48:49], v[82:83] offset1:9
	ds_write2_b64 v142, v[86:87], v[92:93] offset0:18 offset1:27
	ds_write2_b64 v142, v[98:99], v[50:51] offset0:36 offset1:45
	ds_write2_b64 v142, v[84:85], v[90:91] offset0:54 offset1:63
	ds_write2_b64 v142, v[94:95], v[96:97] offset0:72 offset1:81
	ds_write2_b64 v143, v[60:61], v[66:67] offset1:9
	ds_write2_b64 v143, v[70:71], v[74:75] offset0:18 offset1:27
	ds_write2_b64 v143, v[78:79], v[58:59] offset0:36 offset1:45
	ds_write2_b64 v143, v[64:65], v[68:69] offset0:54 offset1:63
	ds_write2_b64 v143, v[72:73], v[76:77] offset0:72 offset1:81
	;; [unrolled: 5-line block ×3, first 2 shown]
	v_add_u32_e32 v48, 0xffffffa6, v180
	v_cmp_gt_u32_e64 s[0:1], s0, v180
	v_mov_b32_e32 v121, 0
	s_waitcnt lgkmcnt(0)
	v_cndmask_b32_e64 v138, v48, v180, s[0:1]
	v_mul_i32_i24_e32 v120, 5, v138
	s_movk_i32 s0, 0xb7
	v_lshl_add_u64 v[128:129], v[120:121], 4, s[8:9]
	v_mul_lo_u16_sdwa v52, v181, s0 dst_sel:DWORD dst_unused:UNUSED_PAD src0_sel:BYTE_0 src1_sel:DWORD
	s_barrier
	global_load_dwordx4 v[48:51], v[128:129], off offset:1408
	v_lshrrev_b16_e32 v120, 14, v52
	v_mul_lo_u16_e32 v52, 0x5a, v120
	v_sub_u16_e32 v139, v181, v52
	v_mul_u32_u24_sdwa v52, v139, v204 dst_sel:DWORD dst_unused:UNUSED_PAD src0_sel:BYTE_0 src1_sel:DWORD
	v_lshlrev_b32_e32 v52, 4, v52
	global_load_dwordx4 v[72:75], v52, s[8:9] offset:1408
	global_load_dwordx4 v[68:71], v[128:129], off offset:1440
	global_load_dwordx4 v[64:67], v52, s[8:9] offset:1440
	global_load_dwordx4 v[60:63], v52, s[8:9] offset:1392
	;; [unrolled: 1-line block ×3, first 2 shown]
	s_movk_i32 s0, 0x2d83
	v_mul_u32_u24_sdwa v53, v152, s0 dst_sel:DWORD dst_unused:UNUSED_PAD src0_sel:WORD_0 src1_sel:DWORD
	v_lshrrev_b32_e32 v140, 20, v53
	v_mul_lo_u16_e32 v53, 0x5a, v140
	v_sub_u16_e32 v141, v152, v53
	v_mul_u32_u24_e32 v53, 5, v141
	v_lshlrev_b32_e32 v53, 4, v53
	global_load_dwordx4 v[84:87], v53, s[8:9] offset:1392
	global_load_dwordx4 v[80:83], v52, s[8:9] offset:1456
	;; [unrolled: 1-line block ×5, first 2 shown]
	v_mul_u32_u24_sdwa v52, v153, s0 dst_sel:DWORD dst_unused:UNUSED_PAD src0_sel:WORD_0 src1_sel:DWORD
	v_lshrrev_b32_e32 v142, 20, v52
	v_mul_lo_u16_e32 v52, 0x5a, v142
	v_sub_u16_e32 v143, v153, v52
	v_mul_u32_u24_e32 v52, 5, v143
	v_lshlrev_b32_e32 v134, 4, v52
	v_mul_u32_u24_sdwa v52, v157, s0 dst_sel:DWORD dst_unused:UNUSED_PAD src0_sel:WORD_0 src1_sel:DWORD
	v_lshrrev_b32_e32 v144, 20, v52
	global_load_dwordx4 v[96:99], v134, s[8:9] offset:1408
	global_load_dwordx4 v[100:103], v53, s[8:9] offset:1440
	;; [unrolled: 1-line block ×4, first 2 shown]
	v_mul_lo_u16_e32 v52, 0x5a, v144
	v_sub_u16_e32 v145, v157, v52
	v_mul_u32_u24_e32 v52, 5, v145
	v_lshlrev_b32_e32 v135, 4, v52
	global_load_dwordx4 v[146:149], v135, s[8:9] offset:1392
	ds_read2_b64 v[130:133], v184 offset0:56 offset1:164
	ds_read2_b64 v[158:161], v185 offset0:112 offset1:220
	global_load_dwordx4 v[162:165], v[128:129], off offset:1424
	global_load_dwordx4 v[52:55], v[128:129], off offset:1392
	global_load_dwordx4 v[166:169], v135, s[8:9] offset:1408
	global_load_dwordx4 v[204:207], v135, s[8:9] offset:1424
	global_load_dwordx4 v[170:173], v134, s[8:9] offset:1424
	global_load_dwordx4 v[216:219], v135, s[8:9] offset:1440
	global_load_dwordx4 v[220:223], v135, s[8:9] offset:1456
	global_load_dwordx4 v[208:211], v[128:129], off offset:1456
	ds_read2_b64 v[174:177], v136 offset0:136 offset1:244
	ds_read2_b64 v[212:215], v188 offset0:64 offset1:172
	s_movk_i32 s0, 0x59
	v_cmp_lt_u32_e64 s[0:1], s0, v180
	s_movk_i32 s12, 0x2000
	s_waitcnt vmcnt(23) lgkmcnt(3)
	v_mul_f64 v[126:127], v[130:131], v[50:51]
	v_fma_f64 v[126:127], v[44:45], v[48:49], -v[126:127]
	v_mul_f64 v[44:45], v[44:45], v[50:51]
	v_fmac_f64_e32 v[44:45], v[130:131], v[48:49]
	s_waitcnt vmcnt(22)
	v_mul_f64 v[48:49], v[132:133], v[74:75]
	s_waitcnt vmcnt(21) lgkmcnt(2)
	v_mul_f64 v[50:51], v[158:159], v[70:71]
	v_fma_f64 v[48:49], v[46:47], v[72:73], -v[48:49]
	v_mul_f64 v[46:47], v[46:47], v[74:75]
	v_fma_f64 v[130:131], v[40:41], v[68:69], -v[50:51]
	v_mul_f64 v[40:41], v[40:41], v[70:71]
	s_waitcnt vmcnt(20)
	v_mul_f64 v[74:75], v[42:43], v[66:67]
	v_fmac_f64_e32 v[40:41], v[158:159], v[68:69]
	v_mul_f64 v[50:51], v[160:161], v[66:67]
	v_fmac_f64_e32 v[74:75], v[160:161], v[64:65]
	global_load_dwordx4 v[158:161], v134, s[8:9] offset:1456
	v_fma_f64 v[68:69], v[42:43], v[64:65], -v[50:51]
	s_waitcnt vmcnt(20) lgkmcnt(1)
	v_mul_f64 v[42:43], v[174:175], v[62:63]
	v_fmac_f64_e32 v[46:47], v[132:133], v[72:73]
	ds_read2_b64 v[64:67], v187 offset0:120 offset1:228
	v_fma_f64 v[70:71], v[36:37], v[60:61], -v[42:43]
	v_mul_f64 v[72:73], v[36:37], v[62:63]
	s_waitcnt vmcnt(19) lgkmcnt(1)
	v_mul_f64 v[36:37], v[212:213], v[58:59]
	v_fmac_f64_e32 v[72:73], v[174:175], v[60:61]
	v_fma_f64 v[42:43], v[32:33], v[56:57], -v[36:37]
	v_mul_f64 v[36:37], v[32:33], v[58:59]
	ds_read2_b64 v[58:61], v191 offset0:16 offset1:124
	s_waitcnt vmcnt(18)
	v_mul_f64 v[32:33], v[176:177], v[86:87]
	s_waitcnt vmcnt(17)
	v_mul_f64 v[134:135], v[28:29], v[82:83]
	v_fma_f64 v[32:33], v[38:39], v[84:85], -v[32:33]
	v_mul_f64 v[50:51], v[38:39], v[86:87]
	s_waitcnt lgkmcnt(1)
	v_mul_f64 v[38:39], v[64:65], v[82:83]
	v_fmac_f64_e32 v[134:135], v[64:65], v[80:81]
	ds_read2_b64 v[62:65], v192 offset0:72 offset1:180
	v_fmac_f64_e32 v[36:37], v[212:213], v[56:57]
	v_fma_f64 v[56:57], v[28:29], v[80:81], -v[38:39]
	s_waitcnt vmcnt(16) lgkmcnt(1)
	v_mul_f64 v[28:29], v[58:59], v[78:79]
	v_fma_f64 v[128:129], v[24:25], v[76:77], -v[28:29]
	v_mul_f64 v[132:133], v[24:25], v[78:79]
	s_waitcnt vmcnt(15)
	v_mul_f64 v[24:25], v[214:215], v[94:95]
	v_fmac_f64_e32 v[132:133], v[58:59], v[76:77]
	v_fma_f64 v[28:29], v[34:35], v[92:93], -v[24:25]
	v_mul_f64 v[24:25], v[34:35], v[94:95]
	s_waitcnt vmcnt(14)
	v_mul_f64 v[34:35], v[66:67], v[90:91]
	s_waitcnt vmcnt(13)
	v_mul_f64 v[76:77], v[26:27], v[98:99]
	v_fma_f64 v[34:35], v[30:31], v[88:89], -v[34:35]
	v_mul_f64 v[94:95], v[30:31], v[90:91]
	v_mul_f64 v[30:31], v[60:61], v[98:99]
	v_fmac_f64_e32 v[76:77], v[60:61], v[96:97]
	ds_read2_b64 v[58:61], v137 offset0:96 offset1:204
	v_fma_f64 v[30:31], v[26:27], v[96:97], -v[30:31]
	s_waitcnt vmcnt(12) lgkmcnt(1)
	v_mul_f64 v[26:27], v[62:63], v[102:103]
	v_mul_f64 v[102:103], v[20:21], v[102:103]
	s_waitcnt vmcnt(11)
	v_mul_f64 v[96:97], v[22:23], v[110:111]
	v_fma_f64 v[98:99], v[20:21], v[100:101], -v[26:27]
	v_fmac_f64_e32 v[102:103], v[62:63], v[100:101]
	v_mul_f64 v[20:21], v[64:65], v[110:111]
	v_fmac_f64_e32 v[96:97], v[64:65], v[108:109]
	ds_read2_b64 v[62:65], v195 offset0:104 offset1:212
	v_fmac_f64_e32 v[94:95], v[66:67], v[88:89]
	v_fma_f64 v[90:91], v[22:23], v[108:109], -v[20:21]
	s_waitcnt vmcnt(10) lgkmcnt(1)
	v_mul_f64 v[20:21], v[58:59], v[106:107]
	v_mul_f64 v[88:89], v[16:17], v[106:107]
	v_fma_f64 v[78:79], v[16:17], v[104:105], -v[20:21]
	v_fmac_f64_e32 v[88:89], v[58:59], v[104:105]
	s_waitcnt vmcnt(9)
	v_mul_f64 v[16:17], v[60:61], v[148:149]
	s_waitcnt vmcnt(8)
	v_mul_f64 v[58:59], v[10:11], v[164:165]
	v_fma_f64 v[20:21], v[18:19], v[146:147], -v[16:17]
	s_waitcnt lgkmcnt(0)
	v_mul_f64 v[16:17], v[64:65], v[164:165]
	v_fmac_f64_e32 v[58:59], v[64:65], v[162:163]
	ds_read2_b64 v[64:67], v200 offset0:24 offset1:132
	v_mul_f64 v[18:19], v[18:19], v[148:149]
	v_fmac_f64_e32 v[18:19], v[60:61], v[146:147]
	v_fma_f64 v[60:61], v[10:11], v[162:163], -v[16:17]
	s_waitcnt vmcnt(6)
	v_mul_f64 v[10:11], v[62:63], v[168:169]
	v_fmac_f64_e32 v[24:25], v[214:215], v[92:93]
	v_fma_f64 v[92:93], v[8:9], v[166:167], -v[10:11]
	s_waitcnt vmcnt(4) lgkmcnt(0)
	v_mul_f64 v[10:11], v[64:65], v[172:173]
	v_fma_f64 v[26:27], v[12:13], v[170:171], -v[10:11]
	v_mul_f64 v[22:23], v[12:13], v[172:173]
	v_mul_f64 v[12:13], v[14:15], v[206:207]
	v_fmac_f64_e32 v[22:23], v[64:65], v[170:171]
	v_mul_f64 v[10:11], v[66:67], v[206:207]
	v_fmac_f64_e32 v[12:13], v[66:67], v[204:205]
	ds_read2_b64 v[64:67], v199 offset0:80 offset1:188
	ds_read2_b64 v[80:83], v196 offset0:32 offset1:140
	v_fma_f64 v[16:17], v[14:15], v[204:205], -v[10:11]
	v_mul_f64 v[8:9], v[8:9], v[168:169]
	v_fmac_f64_e32 v[8:9], v[62:63], v[166:167]
	v_mul_f64 v[106:107], v[124:125], v[54:55]
	s_waitcnt vmcnt(1) lgkmcnt(0)
	v_mul_f64 v[10:11], v[82:83], v[210:211]
	v_fma_f64 v[62:63], v[2:3], v[208:209], -v[10:11]
	v_mul_f64 v[10:11], v[2:3], v[210:211]
	v_fmac_f64_e32 v[10:11], v[82:83], v[208:209]
	v_mul_f64 v[2:3], v[80:81], v[218:219]
	s_waitcnt vmcnt(0)
	v_mul_f64 v[100:101], v[4:5], v[160:161]
	v_mul_f64 v[14:15], v[64:65], v[160:161]
	v_fmac_f64_e32 v[100:101], v[64:65], v[158:159]
	ds_read_b64 v[64:65], v203
	v_fma_f64 v[38:39], v[4:5], v[158:159], -v[14:15]
	v_mul_f64 v[4:5], v[66:67], v[222:223]
	v_fma_f64 v[14:15], v[6:7], v[220:221], -v[4:5]
	v_mul_f64 v[4:5], v[6:7], v[222:223]
	ds_read_b64 v[6:7], v201
	v_fmac_f64_e32 v[4:5], v[66:67], v[220:221]
	s_waitcnt lgkmcnt(1)
	v_mul_f64 v[66:67], v[64:65], v[54:55]
	v_fma_f64 v[104:105], v[124:125], v[52:53], -v[66:67]
	v_fmac_f64_e32 v[106:107], v[64:65], v[52:53]
	v_add_f64 v[54:55], v[126:127], v[130:131]
	v_add_f64 v[64:65], v[60:61], v[62:63]
	v_fma_f64 v[2:3], v[0:1], v[216:217], -v[2:3]
	v_mul_f64 v[0:1], v[0:1], v[218:219]
	v_add_f64 v[52:53], v[122:123], v[126:127]
	v_fmac_f64_e32 v[122:123], -0.5, v[54:55]
	v_add_f64 v[54:55], v[104:105], v[60:61]
	v_fmac_f64_e32 v[104:105], -0.5, v[64:65]
	v_add_f64 v[64:65], v[106:107], v[58:59]
	v_add_f64 v[66:67], v[58:59], v[10:11]
	v_add_f64 v[58:59], v[58:59], -v[10:11]
	v_fmac_f64_e32 v[0:1], v[80:81], v[216:217]
	v_fmac_f64_e32 v[106:107], -0.5, v[66:67]
	v_add_f64 v[66:67], v[54:55], v[62:63]
	v_add_f64 v[60:61], v[60:61], -v[62:63]
	v_add_f64 v[62:63], v[52:53], v[130:131]
	v_mov_b32_e32 v52, 0x10e0
	v_fma_f64 v[80:81], s[2:3], v[58:59], v[104:105]
	v_fmac_f64_e32 v[104:105], s[4:5], v[58:59]
	v_cndmask_b32_e64 v52, 0, v52, s[0:1]
	v_lshlrev_b32_e32 v53, 3, v138
	v_fma_f64 v[82:83], s[4:5], v[60:61], v[106:107]
	v_add_f64 v[86:87], v[44:45], -v[40:41]
	v_fmac_f64_e32 v[106:107], s[2:3], v[60:61]
	v_mul_f64 v[60:61], v[104:105], -0.5
	v_fmac_f64_e32 v[50:51], v[176:177], v[84:85]
	v_add3_u32 v204, 0, v52, v53
	v_mul_f64 v[84:85], v[82:83], s[2:3]
	v_fma_f64 v[124:125], s[2:3], v[86:87], v[122:123]
	v_fmac_f64_e32 v[122:123], s[4:5], v[86:87]
	v_fmac_f64_e32 v[60:61], s[2:3], v[106:107]
	v_fmac_f64_e32 v[84:85], 0.5, v[80:81]
	v_add_f64 v[146:147], v[62:63], v[66:67]
	v_add_f64 v[58:59], v[62:63], -v[66:67]
	v_add_u32_e32 v205, 0x400, v204
	v_add_f64 v[62:63], v[122:123], v[60:61]
	ds_read_b64 v[108:109], v183
	ds_read_b64 v[110:111], v186
	;; [unrolled: 1-line block ×4, first 2 shown]
	s_waitcnt lgkmcnt(0)
	s_barrier
	ds_write2_b64 v205, v[62:63], v[58:59] offset0:52 offset1:142
	v_add_f64 v[58:59], v[124:125], -v[84:85]
	v_add_f64 v[60:61], v[122:123], -v[60:61]
	v_add_u32_e32 v206, 0x800, v204
	v_add_f64 v[148:149], v[124:125], v[84:85]
	ds_write2_b64 v206, v[58:59], v[60:61] offset0:104 offset1:194
	v_add_f64 v[60:61], v[48:49], v[68:69]
	v_add_f64 v[62:63], v[42:43], v[56:57]
	ds_write2_b64 v204, v[146:147], v[148:149] offset1:90
	v_add_f64 v[58:59], v[118:119], v[48:49]
	v_fmac_f64_e32 v[118:119], -0.5, v[60:61]
	v_add_f64 v[60:61], v[70:71], v[42:43]
	v_fmac_f64_e32 v[70:71], -0.5, v[62:63]
	v_add_f64 v[146:147], v[72:73], v[36:37]
	v_add_f64 v[62:63], v[36:37], v[134:135]
	v_add_f64 v[36:37], v[36:37], -v[134:135]
	v_fmac_f64_e32 v[72:73], -0.5, v[62:63]
	v_add_f64 v[60:61], v[60:61], v[56:57]
	v_add_f64 v[42:43], v[42:43], -v[56:57]
	v_lshlrev_b32_sdwa v56, v156, v139 dst_sel:DWORD dst_unused:UNUSED_PAD src0_sel:DWORD src1_sel:BYTE_0
	v_fma_f64 v[138:139], s[2:3], v[36:37], v[70:71]
	v_fmac_f64_e32 v[70:71], s[4:5], v[36:37]
	v_mul_u32_u24_e32 v57, 0x10e0, v120
	v_fma_f64 v[148:149], s[4:5], v[42:43], v[72:73]
	v_add_f64 v[62:63], v[46:47], -v[74:75]
	v_fmac_f64_e32 v[72:73], s[2:3], v[42:43]
	v_mul_f64 v[42:43], v[70:71], -0.5
	v_add3_u32 v120, 0, v57, v56
	v_add_f64 v[56:57], v[58:59], v[68:69]
	v_mul_f64 v[58:59], v[148:149], s[2:3]
	v_fma_f64 v[66:67], s[2:3], v[62:63], v[118:119]
	v_fmac_f64_e32 v[118:119], s[4:5], v[62:63]
	v_fmac_f64_e32 v[42:43], s[2:3], v[72:73]
	v_fmac_f64_e32 v[58:59], 0.5, v[138:139]
	v_add_f64 v[84:85], v[56:57], v[60:61]
	v_add_f64 v[36:37], v[56:57], -v[60:61]
	v_add_u32_e32 v156, 0x400, v120
	v_add_f64 v[56:57], v[118:119], v[42:43]
	ds_write2_b64 v156, v[56:57], v[36:37] offset0:52 offset1:142
	v_add_f64 v[36:37], v[66:67], -v[58:59]
	v_add_f64 v[42:43], v[118:119], -v[42:43]
	v_add_u32_e32 v207, 0x800, v120
	ds_write2_b64 v207, v[36:37], v[42:43] offset0:104 offset1:194
	v_add_f64 v[42:43], v[128:129], v[98:99]
	v_add_f64 v[56:57], v[28:29], v[34:35]
	;; [unrolled: 1-line block ×3, first 2 shown]
	v_fmac_f64_e32 v[116:117], -0.5, v[42:43]
	v_add_f64 v[42:43], v[32:33], v[28:29]
	v_fmac_f64_e32 v[32:33], -0.5, v[56:57]
	v_add_f64 v[118:119], v[50:51], v[24:25]
	v_add_f64 v[56:57], v[24:25], v[94:95]
	v_add_f64 v[24:25], v[24:25], -v[94:95]
	v_fmac_f64_e32 v[50:51], -0.5, v[56:57]
	v_add_f64 v[42:43], v[42:43], v[34:35]
	v_add_f64 v[28:29], v[28:29], -v[34:35]
	v_mul_u32_u24_e32 v34, 0x10e0, v140
	v_lshlrev_b32_e32 v35, 3, v141
	v_fma_f64 v[140:141], s[2:3], v[24:25], v[32:33]
	v_fmac_f64_e32 v[32:33], s[4:5], v[24:25]
	v_fma_f64 v[158:159], s[4:5], v[28:29], v[50:51]
	v_add_f64 v[56:57], v[132:133], -v[102:103]
	v_fmac_f64_e32 v[50:51], s[2:3], v[28:29]
	v_mul_f64 v[28:29], v[32:33], -0.5
	v_add_f64 v[86:87], v[66:67], v[58:59]
	v_add3_u32 v208, 0, v34, v35
	v_add_f64 v[34:35], v[36:37], v[98:99]
	v_mul_f64 v[36:37], v[158:159], s[2:3]
	v_fma_f64 v[58:59], s[2:3], v[56:57], v[116:117]
	v_fmac_f64_e32 v[116:117], s[4:5], v[56:57]
	v_fmac_f64_e32 v[28:29], s[2:3], v[50:51]
	v_fmac_f64_e32 v[36:37], 0.5, v[140:141]
	v_add_f64 v[60:61], v[34:35], v[42:43]
	v_add_f64 v[24:25], v[34:35], -v[42:43]
	v_add_u32_e32 v209, 0x400, v208
	v_add_f64 v[34:35], v[116:117], v[28:29]
	ds_write2_b64 v120, v[84:85], v[86:87] offset1:90
	ds_write2_b64 v209, v[34:35], v[24:25] offset0:52 offset1:142
	v_add_f64 v[24:25], v[58:59], -v[36:37]
	v_add_f64 v[28:29], v[116:117], -v[28:29]
	v_add_u32_e32 v210, 0x800, v208
	ds_write2_b64 v210, v[24:25], v[28:29] offset0:104 offset1:194
	v_add_f64 v[28:29], v[30:31], v[90:91]
	v_add_f64 v[34:35], v[26:27], v[38:39]
	;; [unrolled: 1-line block ×3, first 2 shown]
	v_fmac_f64_e32 v[114:115], -0.5, v[28:29]
	v_add_f64 v[28:29], v[78:79], v[26:27]
	v_fmac_f64_e32 v[78:79], -0.5, v[34:35]
	v_add_f64 v[116:117], v[88:89], v[22:23]
	v_add_f64 v[34:35], v[22:23], v[100:101]
	v_add_f64 v[22:23], v[22:23], -v[100:101]
	v_fmac_f64_e32 v[88:89], -0.5, v[34:35]
	v_add_f64 v[28:29], v[28:29], v[38:39]
	v_add_f64 v[26:27], v[26:27], -v[38:39]
	v_mul_u32_u24_e32 v34, 0x10e0, v142
	v_lshlrev_b32_e32 v35, 3, v143
	v_add_f64 v[24:25], v[24:25], v[90:91]
	v_fma_f64 v[142:143], s[2:3], v[22:23], v[78:79]
	v_fmac_f64_e32 v[78:79], s[4:5], v[22:23]
	v_add_f64 v[62:63], v[58:59], v[36:37]
	v_fma_f64 v[160:161], s[4:5], v[26:27], v[88:89]
	v_add_f64 v[36:37], v[76:77], -v[96:97]
	v_add_f64 v[42:43], v[24:25], v[28:29]
	v_fmac_f64_e32 v[88:89], s[2:3], v[26:27]
	v_add_f64 v[22:23], v[24:25], -v[28:29]
	v_mul_f64 v[24:25], v[78:79], -0.5
	v_add3_u32 v211, 0, v34, v35
	v_mul_f64 v[34:35], v[160:161], s[2:3]
	v_fma_f64 v[38:39], s[2:3], v[36:37], v[114:115]
	v_fmac_f64_e32 v[114:115], s[4:5], v[36:37]
	v_fmac_f64_e32 v[24:25], s[2:3], v[88:89]
	v_fmac_f64_e32 v[34:35], 0.5, v[142:143]
	v_add_u32_e32 v212, 0x400, v211
	v_add_f64 v[26:27], v[114:115], v[24:25]
	ds_write2_b64 v208, v[60:61], v[62:63] offset1:90
	ds_write2_b64 v212, v[26:27], v[22:23] offset0:52 offset1:142
	v_add_f64 v[22:23], v[38:39], -v[34:35]
	v_add_f64 v[24:25], v[114:115], -v[24:25]
	v_add_u32_e32 v213, 0x800, v211
	ds_write2_b64 v213, v[22:23], v[24:25] offset0:104 offset1:194
	v_add_f64 v[24:25], v[92:93], v[2:3]
	v_add_f64 v[26:27], v[16:17], v[14:15]
	;; [unrolled: 1-line block ×3, first 2 shown]
	v_fmac_f64_e32 v[112:113], -0.5, v[24:25]
	v_add_f64 v[24:25], v[20:21], v[16:17]
	v_fmac_f64_e32 v[20:21], -0.5, v[26:27]
	v_add_f64 v[26:27], v[12:13], v[4:5]
	v_add_f64 v[162:163], v[18:19], v[12:13]
	v_fmac_f64_e32 v[18:19], -0.5, v[26:27]
	v_add_f64 v[24:25], v[24:25], v[14:15]
	v_add_f64 v[14:15], v[16:17], -v[14:15]
	v_mul_u32_u24_e32 v16, 0x10e0, v144
	v_lshlrev_b32_e32 v17, 3, v145
	v_add_f64 v[12:13], v[12:13], -v[4:5]
	v_fma_f64 v[164:165], s[4:5], v[14:15], v[18:19]
	v_add3_u32 v214, 0, v16, v17
	v_add_f64 v[16:17], v[22:23], v[2:3]
	v_fma_f64 v[144:145], s[2:3], v[12:13], v[20:21]
	v_mul_f64 v[22:23], v[164:165], s[2:3]
	v_add_f64 v[26:27], v[8:9], -v[0:1]
	v_fmac_f64_e32 v[22:23], 0.5, v[144:145]
	v_fma_f64 v[28:29], s[2:3], v[26:27], v[112:113]
	v_fmac_f64_e32 v[20:21], s[4:5], v[12:13]
	v_add_f64 v[56:57], v[38:39], v[34:35]
	v_add_f64 v[34:35], v[16:17], v[24:25]
	;; [unrolled: 1-line block ×3, first 2 shown]
	v_fmac_f64_e32 v[18:19], s[2:3], v[14:15]
	v_mul_f64 v[12:13], v[20:21], -0.5
	ds_write2_b64 v211, v[42:43], v[56:57] offset1:90
	ds_write2_b64 v214, v[34:35], v[36:37] offset1:90
	v_add_f64 v[34:35], v[108:109], v[44:45]
	v_fmac_f64_e32 v[112:113], s[4:5], v[26:27]
	v_fmac_f64_e32 v[12:13], s[2:3], v[18:19]
	v_add_f64 v[166:167], v[34:35], v[40:41]
	v_add_f64 v[34:35], v[44:45], v[40:41]
	v_add_f64 v[170:171], v[64:65], v[10:11]
	v_mul_f64 v[172:173], v[80:81], s[4:5]
	v_add_f64 v[10:11], v[16:17], -v[24:25]
	v_add_f64 v[14:15], v[28:29], -v[22:23]
	v_add_f64 v[16:17], v[112:113], v[12:13]
	v_add_f64 v[12:13], v[112:113], -v[12:13]
	v_add_u32_e32 v215, 0x400, v214
	v_add_u32_e32 v216, 0x800, v214
	v_fmac_f64_e32 v[108:109], -0.5, v[34:35]
	v_add_f64 v[168:169], v[126:127], -v[130:131]
	v_fmac_f64_e32 v[172:173], 0.5, v[82:83]
	ds_write2_b64 v215, v[16:17], v[10:11] offset0:52 offset1:142
	ds_write2_b64 v216, v[14:15], v[12:13] offset0:104 offset1:194
	s_waitcnt lgkmcnt(0)
	s_barrier
	ds_read_b64 v[122:123], v183
	ds_read_b64 v[126:127], v186
	ds_read_b64 v[130:131], v189
	ds_read_b64 v[112:113], v202
	ds_read_b64 v[124:125], v203
	ds_read_b64 v[114:115], v201
	ds_read2_b64 v[26:29], v184 offset0:56 offset1:164
	ds_read2_b64 v[14:17], v195 offset0:104 offset1:212
	;; [unrolled: 1-line block ×12, first 2 shown]
	v_mul_f64 v[106:107], v[106:107], -0.5
	v_fma_f64 v[174:175], s[4:5], v[168:169], v[108:109]
	v_fmac_f64_e32 v[108:109], s[2:3], v[168:169]
	v_fmac_f64_e32 v[106:107], s[4:5], v[104:105]
	v_add_f64 v[176:177], v[166:167], v[170:171]
	v_add_f64 v[104:105], v[166:167], -v[170:171]
	v_add_f64 v[166:167], v[108:109], v[106:107]
	v_add_f64 v[106:107], v[108:109], -v[106:107]
	v_add_f64 v[108:109], v[110:111], v[46:47]
	v_add_f64 v[46:47], v[46:47], v[74:75]
	v_fmac_f64_e32 v[110:111], -0.5, v[46:47]
	v_add_f64 v[46:47], v[48:49], -v[68:69]
	v_add_f64 v[108:109], v[108:109], v[74:75]
	v_fma_f64 v[48:49], s[4:5], v[46:47], v[110:111]
	v_fmac_f64_e32 v[110:111], s[2:3], v[46:47]
	v_add_f64 v[46:47], v[146:147], v[134:135]
	v_mul_f64 v[72:73], v[72:73], -0.5
	v_fmac_f64_e32 v[72:73], s[4:5], v[70:71]
	v_add_f64 v[70:71], v[108:109], v[46:47]
	v_add_f64 v[46:47], v[108:109], -v[46:47]
	v_add_f64 v[108:109], v[54:55], v[132:133]
	v_add_f64 v[108:109], v[108:109], v[102:103]
	;; [unrolled: 1-line block ×3, first 2 shown]
	v_fmac_f64_e32 v[54:55], -0.5, v[102:103]
	v_add_f64 v[98:99], v[128:129], -v[98:99]
	v_fma_f64 v[102:103], s[4:5], v[98:99], v[54:55]
	v_fmac_f64_e32 v[54:55], s[2:3], v[98:99]
	v_mul_f64 v[98:99], v[140:141], s[4:5]
	v_mul_f64 v[50:51], v[50:51], -0.5
	v_add_f64 v[94:95], v[118:119], v[94:95]
	v_fmac_f64_e32 v[98:99], 0.5, v[158:159]
	v_fmac_f64_e32 v[50:51], s[4:5], v[32:33]
	v_add_f64 v[32:33], v[108:109], v[94:95]
	v_add_f64 v[94:95], v[108:109], -v[94:95]
	v_add_f64 v[108:109], v[102:103], v[98:99]
	v_add_f64 v[98:99], v[102:103], -v[98:99]
	;; [unrolled: 2-line block ×3, first 2 shown]
	v_add_f64 v[54:55], v[52:53], v[76:77]
	v_add_f64 v[76:77], v[76:77], v[96:97]
	v_fmac_f64_e32 v[52:53], -0.5, v[76:77]
	v_add_f64 v[30:31], v[30:31], -v[90:91]
	v_mul_f64 v[90:91], v[142:143], s[4:5]
	v_mul_f64 v[88:89], v[88:89], -0.5
	v_add_f64 v[54:55], v[54:55], v[96:97]
	v_fma_f64 v[76:77], s[4:5], v[30:31], v[52:53]
	v_fmac_f64_e32 v[52:53], s[2:3], v[30:31]
	v_add_f64 v[30:31], v[116:117], v[100:101]
	v_fmac_f64_e32 v[90:91], 0.5, v[160:161]
	v_fmac_f64_e32 v[88:89], s[4:5], v[78:79]
	v_add_f64 v[78:79], v[54:55], v[30:31]
	v_add_f64 v[30:31], v[54:55], -v[30:31]
	v_add_f64 v[54:55], v[76:77], v[90:91]
	v_add_f64 v[76:77], v[76:77], -v[90:91]
	;; [unrolled: 2-line block ×3, first 2 shown]
	v_add_f64 v[88:89], v[6:7], v[8:9]
	v_add_f64 v[88:89], v[88:89], v[0:1]
	;; [unrolled: 1-line block ×3, first 2 shown]
	v_fmac_f64_e32 v[6:7], -0.5, v[0:1]
	v_add_f64 v[0:1], v[92:93], -v[2:3]
	v_mul_f64 v[68:69], v[138:139], s[4:5]
	v_fma_f64 v[2:3], s[4:5], v[0:1], v[6:7]
	v_fmac_f64_e32 v[6:7], s[2:3], v[0:1]
	v_add_f64 v[0:1], v[162:163], v[4:5]
	v_mul_f64 v[4:5], v[144:145], s[4:5]
	v_mul_f64 v[8:9], v[18:19], -0.5
	s_waitcnt lgkmcnt(0)
	s_barrier
	v_add_f64 v[178:179], v[174:175], v[172:173]
	ds_write2_b64 v205, v[166:167], v[104:105] offset0:52 offset1:142
	v_add_f64 v[104:105], v[174:175], -v[172:173]
	v_fmac_f64_e32 v[68:69], 0.5, v[148:149]
	v_fmac_f64_e32 v[4:5], 0.5, v[164:165]
	v_fmac_f64_e32 v[8:9], s[4:5], v[20:21]
	ds_write2_b64 v204, v[176:177], v[178:179] offset1:90
	v_add_f64 v[74:75], v[48:49], v[68:69]
	v_add_f64 v[48:49], v[48:49], -v[68:69]
	v_add_f64 v[68:69], v[110:111], v[72:73]
	v_add_f64 v[72:73], v[110:111], -v[72:73]
	;; [unrolled: 2-line block ×5, first 2 shown]
	ds_write2_b64 v206, v[104:105], v[106:107] offset0:104 offset1:194
	ds_write2_b64 v120, v[70:71], v[74:75] offset1:90
	ds_write2_b64 v156, v[68:69], v[46:47] offset0:52 offset1:142
	ds_write2_b64 v207, v[48:49], v[72:73] offset0:104 offset1:194
	ds_write2_b64 v208, v[32:33], v[108:109] offset1:90
	ds_write2_b64 v209, v[102:103], v[94:95] offset0:52 offset1:142
	ds_write2_b64 v210, v[98:99], v[50:51] offset0:104 offset1:194
	ds_write2_b64 v211, v[78:79], v[54:55] offset1:90
	ds_write2_b64 v212, v[90:91], v[30:31] offset0:52 offset1:142
	ds_write2_b64 v213, v[76:77], v[52:53] offset0:104 offset1:194
	ds_write2_b64 v214, v[18:19], v[20:21] offset1:90
	ds_write2_b64 v215, v[4:5], v[0:1] offset0:52 offset1:142
	ds_write2_b64 v216, v[2:3], v[6:7] offset0:104 offset1:194
	s_waitcnt lgkmcnt(0)
	s_barrier
	s_and_saveexec_b64 s[0:1], vcc
	s_cbranch_execz .LBB0_15
; %bb.14:
	v_mul_i32_i24_e32 v120, 5, v157
	v_lshl_add_u64 v[8:9], v[120:121], 4, s[8:9]
	s_mov_b64 s[0:1], 0x2190
	v_lshl_add_u64 v[18:19], v[8:9], 0, s[0:1]
	v_add_co_u32_e32 v8, vcc, 0x2000, v8
	global_load_dwordx4 v[0:3], v[18:19], off offset:16
	global_load_dwordx4 v[4:7], v[18:19], off offset:32
	v_addc_co_u32_e32 v9, vcc, 0, v9, vcc
	global_load_dwordx4 v[18:21], v[18:19], off offset:48
	s_nop 0
	global_load_dwordx4 v[30:33], v[8:9], off offset:400
	global_load_dwordx4 v[88:91], v[8:9], off offset:464
	v_mul_lo_u32 v9, s11, v154
	v_mul_lo_u32 v46, s10, v155
	v_mad_u64_u32 v[128:129], s[10:11], s10, v154, 0
	v_mul_i32_i24_e32 v120, 5, v153
	v_add3_u32 v129, v129, v46, v9
	v_lshl_add_u64 v[46:47], v[120:121], 4, s[8:9]
	v_sub_u32_e32 v8, 0, v197
	v_lshl_add_u64 v[96:97], v[46:47], 0, s[0:1]
	v_add_co_u32_e32 v46, vcc, s12, v46
	v_add_u32_e32 v8, v193, v8
	s_nop 0
	v_addc_co_u32_e32 v47, vcc, 0, v47, vcc
	ds_read2_b64 v[52:55], v195 offset0:104 offset1:212
	ds_read2_b64 v[48:51], v196 offset0:32 offset1:140
	;; [unrolled: 1-line block ×5, first 2 shown]
	ds_read_b64 v[8:9], v8
	global_load_dwordx4 v[92:95], v[46:47], off offset:400
	global_load_dwordx4 v[108:111], v[96:97], off offset:48
	;; [unrolled: 1-line block ×5, first 2 shown]
	v_mul_i32_i24_e32 v120, 5, v152
	v_sub_u32_e32 v133, 0, v194
	v_sub_u32_e32 v132, 0, v198
	s_waitcnt vmcnt(9) lgkmcnt(5)
	v_mul_f64 v[46:47], v[2:3], v[52:53]
	v_mul_f64 v[52:53], v[0:1], v[52:53]
	s_waitcnt vmcnt(8) lgkmcnt(2)
	v_mul_f64 v[96:97], v[6:7], v[74:75]
	v_mul_f64 v[74:75], v[4:5], v[74:75]
	v_fma_f64 v[46:47], v[14:15], v[0:1], -v[46:47]
	s_waitcnt vmcnt(7)
	v_mul_f64 v[0:1], v[20:21], v[48:49]
	v_fmac_f64_e32 v[52:53], v[14:15], v[2:3]
	v_mul_f64 v[2:3], v[18:19], v[48:49]
	v_fma_f64 v[48:49], v[66:67], v[4:5], -v[96:97]
	s_waitcnt vmcnt(5) lgkmcnt(1)
	v_mul_f64 v[4:5], v[90:91], v[78:79]
	v_mul_f64 v[14:15], v[32:33], v[70:71]
	v_fmac_f64_e32 v[74:75], v[66:67], v[6:7]
	v_mul_f64 v[6:7], v[88:89], v[78:79]
	v_mul_f64 v[66:67], v[30:31], v[70:71]
	v_fmac_f64_e32 v[2:3], v[10:11], v[20:21]
	v_fma_f64 v[20:21], v[62:63], v[88:89], -v[4:5]
	v_fma_f64 v[18:19], v[10:11], v[18:19], -v[0:1]
	v_fma_f64 v[14:15], v[58:59], v[30:31], -v[14:15]
	v_fmac_f64_e32 v[6:7], v[62:63], v[90:91]
	v_fmac_f64_e32 v[66:67], v[58:59], v[32:33]
	s_waitcnt lgkmcnt(0)
	v_add_f64 v[0:1], v[52:53], v[8:9]
	v_add_f64 v[10:11], v[52:53], v[2:3]
	;; [unrolled: 1-line block ×3, first 2 shown]
	v_add_f64 v[32:33], v[74:75], -v[6:7]
	v_add_f64 v[62:63], v[74:75], v[6:7]
	v_add_f64 v[70:71], v[2:3], v[0:1]
	;; [unrolled: 1-line block ×3, first 2 shown]
	v_fma_f64 v[78:79], -0.5, v[10:11], v[8:9]
	v_fma_f64 v[8:9], -0.5, v[30:31], v[14:15]
	v_add_f64 v[58:59], v[48:49], -v[20:21]
	v_fma_f64 v[30:31], -0.5, v[62:63], v[66:67]
	v_add_f64 v[62:63], v[0:1], v[6:7]
	v_fma_f64 v[0:1], s[4:5], v[32:33], v[8:9]
	v_fmac_f64_e32 v[8:9], s[2:3], v[32:33]
	v_fma_f64 v[88:89], s[2:3], v[58:59], v[30:31]
	v_fmac_f64_e32 v[30:31], s[4:5], v[58:59]
	v_mul_f64 v[90:91], v[8:9], s[4:5]
	v_fmac_f64_e32 v[90:91], 0.5, v[30:31]
	v_mul_f64 v[30:31], v[30:31], s[2:3]
	v_add_f64 v[74:75], v[46:47], v[18:19]
	v_fmac_f64_e32 v[30:31], 0.5, v[8:9]
	v_add_f64 v[8:9], v[114:115], v[46:47]
	v_add_f64 v[4:5], v[46:47], -v[18:19]
	v_add_f64 v[52:53], v[52:53], -v[2:3]
	v_fma_f64 v[66:67], -0.5, v[74:75], v[114:115]
	v_mul_f64 v[32:33], v[88:89], -0.5
	v_add_f64 v[46:47], v[8:9], v[18:19]
	v_lshl_add_u64 v[18:19], v[120:121], 4, s[8:9]
	v_fma_f64 v[74:75], s[2:3], v[4:5], v[78:79]
	v_fmac_f64_e32 v[78:79], s[4:5], v[4:5]
	v_fma_f64 v[58:59], s[4:5], v[52:53], v[66:67]
	v_fmac_f64_e32 v[32:33], s[4:5], v[0:1]
	v_mul_f64 v[134:135], v[0:1], -0.5
	v_fmac_f64_e32 v[66:67], s[2:3], v[52:53]
	v_add_f64 v[8:9], v[14:15], v[48:49]
	v_lshl_add_u64 v[48:49], v[18:19], 0, s[0:1]
	v_add_co_u32_e32 v52, vcc, s12, v18
	v_add_f64 v[2:3], v[74:75], -v[32:33]
	v_add_f64 v[6:7], v[78:79], -v[90:91]
	v_fmac_f64_e32 v[134:135], s[2:3], v[88:89]
	v_add_f64 v[14:15], v[8:9], v[20:21]
	v_add_f64 v[20:21], v[74:75], v[32:33]
	;; [unrolled: 1-line block ×3, first 2 shown]
	v_addc_co_u32_e32 v53, vcc, 0, v19, vcc
	global_load_dwordx4 v[96:99], v[48:49], off offset:32
	global_load_dwordx4 v[138:141], v[48:49], off offset:16
	;; [unrolled: 1-line block ×4, first 2 shown]
	ds_read2_b64 v[152:155], v192 offset0:72 offset1:180
	ds_read2_b64 v[146:149], v191 offset0:16 offset1:124
	v_add_f64 v[0:1], v[58:59], -v[134:135]
	v_add_f64 v[18:19], v[58:59], v[134:135]
	v_add_f64 v[10:11], v[70:71], -v[62:63]
	s_waitcnt vmcnt(7) lgkmcnt(1)
	v_mul_f64 v[58:59], v[110:111], v[154:155]
	v_add_f64 v[48:49], v[70:71], v[62:63]
	v_fma_f64 v[70:71], v[82:83], v[108:109], -v[58:59]
	v_add_u32_e32 v58, v190, v133
	v_add_f64 v[4:5], v[66:67], -v[30:31]
	v_add_f64 v[30:31], v[66:67], v[30:31]
	ds_read_b64 v[66:67], v58
	s_waitcnt vmcnt(5) lgkmcnt(1)
	v_mul_f64 v[74:75], v[116:117], v[148:149]
	v_mul_f64 v[78:79], v[108:109], v[154:155]
	v_fmac_f64_e32 v[74:75], v[86:87], v[118:119]
	v_fmac_f64_e32 v[78:79], v[82:83], v[110:111]
	v_add_f64 v[58:59], v[74:75], v[78:79]
	s_waitcnt lgkmcnt(0)
	v_fma_f64 v[82:83], -0.5, v[58:59], v[66:67]
	v_mul_f64 v[58:59], v[94:95], v[68:69]
	v_fma_f64 v[108:109], v[56:57], v[92:93], -v[58:59]
	v_mul_f64 v[58:59], v[102:103], v[72:73]
	global_load_dwordx4 v[154:157], v[52:53], off offset:464
	v_fma_f64 v[52:53], v[64:65], v[100:101], -v[58:59]
	s_waitcnt vmcnt(5)
	v_mul_f64 v[58:59], v[106:107], v[76:77]
	v_mul_f64 v[72:73], v[100:101], v[72:73]
	v_fma_f64 v[110:111], v[60:61], v[104:105], -v[58:59]
	v_fmac_f64_e32 v[72:73], v[64:65], v[102:103]
	v_mul_f64 v[64:65], v[104:105], v[76:77]
	v_add_f64 v[58:59], v[52:53], v[110:111]
	v_fmac_f64_e32 v[64:65], v[60:61], v[106:107]
	v_mul_f64 v[68:69], v[92:93], v[68:69]
	v_fma_f64 v[114:115], -0.5, v[58:59], v[108:109]
	v_add_f64 v[60:61], v[72:73], -v[64:65]
	v_fmac_f64_e32 v[68:69], v[56:57], v[94:95]
	v_add_f64 v[56:57], v[72:73], v[64:65]
	v_add_f64 v[8:9], v[46:47], -v[14:15]
	v_add_f64 v[46:47], v[46:47], v[14:15]
	v_mul_f64 v[14:15], v[118:119], v[148:149]
	v_fma_f64 v[76:77], s[4:5], v[60:61], v[114:115]
	v_add_f64 v[100:101], v[52:53], -v[110:111]
	v_fma_f64 v[92:93], -0.5, v[56:57], v[68:69]
	v_fmac_f64_e32 v[114:115], s[2:3], v[60:61]
	v_add_f64 v[60:61], v[74:75], v[66:67]
	v_fma_f64 v[14:15], v[86:87], v[116:117], -v[14:15]
	v_fma_f64 v[56:57], s[2:3], v[100:101], v[92:93]
	v_add_f64 v[102:103], v[78:79], v[60:61]
	v_add_f64 v[60:61], v[68:69], v[72:73]
	v_mul_f64 v[94:95], v[56:57], -0.5
	v_add_f64 v[68:69], v[60:61], v[64:65]
	v_add_f64 v[60:61], v[14:15], v[70:71]
	v_add_f64 v[62:63], v[14:15], -v[70:71]
	v_fmac_f64_e32 v[94:95], s[4:5], v[76:77]
	v_fma_f64 v[72:73], -0.5, v[60:61], v[112:113]
	v_add_f64 v[60:61], v[74:75], -v[78:79]
	v_mul_f64 v[76:77], v[76:77], -0.5
	v_add_f64 v[14:15], v[112:113], v[14:15]
	v_add_f64 v[52:53], v[108:109], v[52:53]
	v_fma_f64 v[86:87], s[2:3], v[62:63], v[82:83]
	v_fma_f64 v[104:105], s[4:5], v[60:61], v[72:73]
	v_fmac_f64_e32 v[76:77], s[2:3], v[56:57]
	v_add_f64 v[14:15], v[14:15], v[70:71]
	v_add_f64 v[52:53], v[52:53], v[110:111]
	v_add_f64 v[58:59], v[86:87], -v[94:95]
	v_add_f64 v[66:67], v[102:103], -v[68:69]
	v_add_f64 v[56:57], v[104:105], -v[76:77]
	v_add_f64 v[64:65], v[14:15], -v[52:53]
	v_add_f64 v[70:71], v[86:87], v[94:95]
	v_add_f64 v[78:79], v[102:103], v[68:69]
	;; [unrolled: 1-line block ×4, first 2 shown]
	v_fmac_f64_e32 v[92:93], s[4:5], v[100:101]
	v_mul_f64 v[100:101], v[114:115], s[4:5]
	v_fmac_f64_e32 v[82:83], s[4:5], v[62:63]
	v_fmac_f64_e32 v[100:101], 0.5, v[92:93]
	v_add_f64 v[62:63], v[82:83], -v[100:101]
	v_mul_f64 v[92:93], v[92:93], s[2:3]
	v_add_f64 v[74:75], v[82:83], v[100:101]
	s_waitcnt vmcnt(3)
	v_mul_f64 v[14:15], v[140:141], v[146:147]
	v_mul_f64 v[94:95], v[138:139], v[146:147]
	v_fma_f64 v[52:53], v[84:85], v[138:139], -v[14:15]
	v_fmac_f64_e32 v[94:95], v[84:85], v[140:141]
	ds_read_b64 v[84:85], v189
	s_waitcnt vmcnt(1)
	v_mul_f64 v[100:101], v[142:143], v[152:153]
	v_fmac_f64_e32 v[72:73], s[2:3], v[60:61]
	v_fmac_f64_e32 v[92:93], 0.5, v[114:115]
	v_mul_f64 v[14:15], v[144:145], v[152:153]
	v_fmac_f64_e32 v[100:101], v[80:81], v[144:145]
	v_add_f64 v[60:61], v[72:73], -v[92:93]
	v_add_f64 v[72:73], v[72:73], v[92:93]
	v_fma_f64 v[92:93], v[80:81], v[142:143], -v[14:15]
	ds_read_b64 v[14:15], v186
	v_add_f64 v[80:81], v[94:95], v[100:101]
	v_mul_i32_i24_e32 v120, 5, v181
	s_waitcnt lgkmcnt(1)
	v_fma_f64 v[102:103], -0.5, v[80:81], v[84:85]
	v_lshl_add_u64 v[80:81], v[120:121], 4, s[8:9]
	v_lshl_add_u64 v[82:83], v[80:81], 0, s[0:1]
	ds_read2_b64 v[104:107], v136 offset0:136 offset1:244
	ds_read2_b64 v[108:111], v188 offset0:64 offset1:172
	global_load_dwordx4 v[134:137], v[82:83], off offset:16
	ds_read2_b64 v[112:115], v187 offset0:120 offset1:228
	v_add_co_u32_e32 v80, vcc, s12, v80
	s_waitcnt lgkmcnt(2)
	v_mul_f64 v[116:117], v[90:91], v[106:107]
	v_fma_f64 v[158:159], v[36:37], v[88:89], -v[116:117]
	s_waitcnt lgkmcnt(1)
	v_mul_f64 v[116:117], v[98:99], v[110:111]
	v_fma_f64 v[160:161], v[44:45], v[96:97], -v[116:117]
	s_waitcnt vmcnt(1) lgkmcnt(0)
	v_mul_f64 v[116:117], v[156:157], v[114:115]
	global_load_dwordx4 v[138:141], v[82:83], off offset:48
	v_fma_f64 v[162:163], v[40:41], v[154:155], -v[116:117]
	v_addc_co_u32_e32 v81, vcc, 0, v81, vcc
	v_add_f64 v[142:143], v[160:161], v[162:163]
	global_load_dwordx4 v[116:119], v[80:81], off offset:400
	global_load_dwordx4 v[146:149], v[80:81], off offset:464
	v_fma_f64 v[164:165], -0.5, v[142:143], v[158:159]
	global_load_dwordx4 v[142:145], v[82:83], off offset:32
	v_mul_f64 v[96:97], v[96:97], v[110:111]
	v_fmac_f64_e32 v[96:97], v[44:45], v[98:99]
	v_mul_f64 v[44:45], v[154:155], v[114:115]
	v_mul_f64 v[88:89], v[88:89], v[106:107]
	v_fmac_f64_e32 v[44:45], v[40:41], v[156:157]
	v_fmac_f64_e32 v[88:89], v[36:37], v[90:91]
	v_add_f64 v[84:85], v[94:95], v[84:85]
	v_add_f64 v[36:37], v[96:97], v[44:45]
	;; [unrolled: 1-line block ×4, first 2 shown]
	v_add_f64 v[86:87], v[52:53], -v[92:93]
	v_add_f64 v[40:41], v[96:97], -v[44:45]
	;; [unrolled: 1-line block ×3, first 2 shown]
	v_fma_f64 v[36:37], -0.5, v[36:37], v[88:89]
	v_add_f64 v[44:45], v[84:85], v[44:45]
	v_add_f64 v[84:85], v[52:53], v[92:93]
	;; [unrolled: 1-line block ×3, first 2 shown]
	v_fma_f64 v[106:107], s[2:3], v[98:99], v[36:37]
	v_add_f64 v[52:53], v[52:53], v[92:93]
	v_mul_u32_u24_e32 v92, 5, v180
	v_fma_f64 v[80:81], s[4:5], v[40:41], v[164:165]
	v_mul_f64 v[110:111], v[106:107], -0.5
	v_fmac_f64_e32 v[164:165], s[2:3], v[40:41]
	v_lshlrev_b32_e32 v120, 4, v92
	v_fma_f64 v[152:153], s[2:3], v[86:87], v[102:103]
	v_fmac_f64_e32 v[110:111], s[4:5], v[80:81]
	v_fmac_f64_e32 v[36:37], s[4:5], v[98:99]
	v_mul_f64 v[40:41], v[164:165], s[4:5]
	v_lshl_add_u64 v[92:93], s[8:9], 0, v[120:121]
	v_add_f64 v[82:83], v[152:153], -v[110:111]
	v_fmac_f64_e32 v[40:41], 0.5, v[36:37]
	v_fma_f64 v[96:97], -0.5, v[84:85], v[130:131]
	v_add_f64 v[84:85], v[94:95], -v[100:101]
	v_mul_f64 v[172:173], v[80:81], -0.5
	v_mul_f64 v[36:37], v[36:37], s[2:3]
	v_add_f64 v[88:89], v[158:159], v[160:161]
	v_add_f64 v[94:95], v[152:153], v[110:111]
	v_lshl_add_u64 v[98:99], v[92:93], 0, s[0:1]
	v_add_co_u32_e32 v110, vcc, s12, v92
	v_fmac_f64_e32 v[172:173], s[2:3], v[106:107]
	v_fmac_f64_e32 v[36:37], 0.5, v[164:165]
	v_add_f64 v[106:107], v[88:89], v[162:163]
	v_addc_co_u32_e32 v111, vcc, 0, v93, vcc
	global_load_dwordx4 v[152:155], v[98:99], off offset:32
	global_load_dwordx4 v[156:159], v[98:99], off offset:16
	;; [unrolled: 1-line block ×4, first 2 shown]
	ds_read2_b64 v[168:171], v184 offset0:56 offset1:164
	v_fmac_f64_e32 v[102:103], s[4:5], v[86:87]
	v_fma_f64 v[100:101], s[4:5], v[84:85], v[96:97]
	v_fmac_f64_e32 v[96:97], s[2:3], v[84:85]
	v_add_f64 v[86:87], v[102:103], -v[40:41]
	v_add_f64 v[90:91], v[114:115], -v[44:45]
	v_add_f64 v[84:85], v[96:97], -v[36:37]
	v_add_f64 v[98:99], v[102:103], v[40:41]
	v_add_f64 v[102:103], v[114:115], v[44:45]
	;; [unrolled: 1-line block ×3, first 2 shown]
	v_add_f64 v[80:81], v[100:101], -v[172:173]
	v_add_f64 v[88:89], v[52:53], -v[106:107]
	v_add_f64 v[92:93], v[100:101], v[172:173]
	v_add_f64 v[100:101], v[52:53], v[106:107]
	ds_read2_b64 v[172:175], v185 offset0:112 offset1:220
	ds_read_b64 v[120:121], v183
	s_waitcnt vmcnt(8) lgkmcnt(2)
	v_mul_f64 v[36:37], v[136:137], v[170:171]
	v_mul_f64 v[114:115], v[134:135], v[170:171]
	v_fma_f64 v[52:53], v[28:29], v[134:135], -v[36:37]
	v_fmac_f64_e32 v[114:115], v[28:29], v[136:137]
	global_load_dwordx4 v[134:137], v[110:111], off offset:464
	s_mov_b32 s0, 0xf2b9d649
	s_movk_i32 s1, 0xca8
	s_waitcnt vmcnt(8) lgkmcnt(1)
	v_mul_f64 v[36:37], v[140:141], v[174:175]
	v_fma_f64 v[106:107], v[24:25], v[138:139], -v[36:37]
	v_mul_f64 v[28:29], v[138:139], v[174:175]
	v_fmac_f64_e32 v[28:29], v[24:25], v[140:141]
	v_add_f64 v[24:25], v[114:115], v[28:29]
	s_waitcnt vmcnt(7)
	v_mul_f64 v[36:37], v[118:119], v[104:105]
	v_fma_f64 v[130:131], v[34:35], v[116:117], -v[36:37]
	v_mul_f64 v[104:105], v[116:117], v[104:105]
	s_waitcnt vmcnt(5)
	v_mul_f64 v[36:37], v[144:145], v[108:109]
	v_mul_f64 v[44:45], v[142:143], v[108:109]
	v_fma_f64 v[138:139], v[42:43], v[142:143], -v[36:37]
	v_mul_f64 v[36:37], v[148:149], v[112:113]
	v_fmac_f64_e32 v[44:45], v[42:43], v[144:145]
	v_mul_f64 v[42:43], v[146:147], v[112:113]
	v_fma_f64 v[140:141], v[38:39], v[146:147], -v[36:37]
	v_fmac_f64_e32 v[42:43], v[38:39], v[148:149]
	v_add_f64 v[36:37], v[138:139], v[140:141]
	v_fmac_f64_e32 v[104:105], v[34:35], v[118:119]
	v_add_f64 v[34:35], v[44:45], v[42:43]
	v_fma_f64 v[170:171], -0.5, v[36:37], v[130:131]
	v_add_f64 v[38:39], v[44:45], -v[42:43]
	v_add_f64 v[112:113], v[138:139], -v[140:141]
	v_fma_f64 v[116:117], -0.5, v[34:35], v[104:105]
	v_fma_f64 v[108:109], s[4:5], v[38:39], v[170:171]
	v_fma_f64 v[34:35], s[2:3], v[112:113], v[116:117]
	v_fmac_f64_e32 v[170:171], s[2:3], v[38:39]
	v_add_f64 v[40:41], v[52:53], -v[106:107]
	v_fma_f64 v[24:25], -0.5, v[24:25], v[14:15]
	v_mul_f64 v[118:119], v[34:35], -0.5
	v_fmac_f64_e32 v[116:117], s[4:5], v[112:113]
	v_mul_f64 v[112:113], v[170:171], s[4:5]
	v_add_f64 v[38:39], v[104:105], v[44:45]
	v_fma_f64 v[110:111], s[2:3], v[40:41], v[24:25]
	v_fmac_f64_e32 v[118:119], s[4:5], v[108:109]
	v_fmac_f64_e32 v[24:25], s[4:5], v[40:41]
	v_fmac_f64_e32 v[112:113], 0.5, v[116:117]
	v_add_f64 v[104:105], v[38:39], v[42:43]
	v_add_f64 v[42:43], v[126:127], v[52:53]
	v_add_f64 v[36:37], v[110:111], -v[118:119]
	v_add_f64 v[40:41], v[24:25], -v[112:113]
	v_add_f64 v[14:15], v[114:115], v[14:15]
	v_add_f64 v[38:39], v[52:53], v[106:107]
	;; [unrolled: 1-line block ×5, first 2 shown]
	v_add_u32_e32 v24, v182, v132
	ds_read_b64 v[24:25], v24
	v_add_f64 v[14:15], v[28:29], v[14:15]
	v_fma_f64 v[142:143], -0.5, v[38:39], v[126:127]
	v_add_f64 v[28:29], v[114:115], -v[28:29]
	v_add_f64 v[42:43], v[130:131], v[138:139]
	v_add_f64 v[44:45], v[14:15], -v[104:105]
	v_fma_f64 v[144:145], s[4:5], v[28:29], v[142:143]
	v_fmac_f64_e32 v[142:143], s[2:3], v[28:29]
	v_mul_f64 v[28:29], v[116:117], s[2:3]
	v_add_f64 v[116:117], v[42:43], v[140:141]
	v_add_f64 v[114:115], v[14:15], v[104:105]
	s_waitcnt vmcnt(3)
	v_mul_f64 v[14:15], v[158:159], v[168:169]
	v_mul_f64 v[118:119], v[156:157], v[168:169]
	v_add_f64 v[42:43], v[52:53], -v[116:117]
	v_add_f64 v[112:113], v[52:53], v[116:117]
	v_fma_f64 v[52:53], v[26:27], v[156:157], -v[14:15]
	v_fmac_f64_e32 v[118:119], v[26:27], v[158:159]
	s_waitcnt vmcnt(1)
	v_mul_f64 v[26:27], v[164:165], v[172:173]
	v_mul_f64 v[14:15], v[166:167], v[172:173]
	v_fmac_f64_e32 v[26:27], v[22:23], v[166:167]
	v_fma_f64 v[116:117], v[22:23], v[164:165], -v[14:15]
	v_add_f64 v[22:23], v[118:119], v[26:27]
	s_waitcnt lgkmcnt(1)
	v_fma_f64 v[126:127], -0.5, v[22:23], v[120:121]
	s_waitcnt lgkmcnt(0)
	v_mul_f64 v[22:23], v[162:163], v[24:25]
	v_mul_f64 v[108:109], v[108:109], -0.5
	v_fma_f64 v[132:133], v[124:125], v[160:161], -v[22:23]
	v_mul_f64 v[22:23], v[154:155], v[54:55]
	v_fmac_f64_e32 v[108:109], s[2:3], v[34:35]
	v_fmac_f64_e32 v[28:29], 0.5, v[170:171]
	v_fma_f64 v[138:139], v[16:17], v[152:153], -v[22:23]
	s_waitcnt vmcnt(0)
	v_mul_f64 v[22:23], v[136:137], v[50:51]
	v_add_f64 v[34:35], v[144:145], -v[108:109]
	v_add_f64 v[38:39], v[142:143], -v[28:29]
	v_add_f64 v[104:105], v[144:145], v[108:109]
	v_add_f64 v[108:109], v[142:143], v[28:29]
	v_fma_f64 v[140:141], v[12:13], v[134:135], -v[22:23]
	v_mul_f64 v[28:29], v[152:153], v[54:55]
	v_mul_f64 v[50:51], v[134:135], v[50:51]
	v_add_f64 v[22:23], v[138:139], v[140:141]
	v_fmac_f64_e32 v[28:29], v[16:17], v[154:155]
	v_fmac_f64_e32 v[50:51], v[12:13], v[136:137]
	v_mul_f64 v[136:137], v[160:161], v[24:25]
	v_fma_f64 v[22:23], -0.5, v[22:23], v[132:133]
	v_add_f64 v[12:13], v[28:29], -v[50:51]
	v_fmac_f64_e32 v[136:137], v[124:125], v[162:163]
	v_add_f64 v[16:17], v[28:29], v[50:51]
	v_add_f64 v[14:15], v[52:53], -v[116:117]
	v_fma_f64 v[54:55], s[4:5], v[12:13], v[22:23]
	v_add_f64 v[134:135], v[138:139], -v[140:141]
	v_fma_f64 v[124:125], -0.5, v[16:17], v[136:137]
	v_fmac_f64_e32 v[22:23], s[2:3], v[12:13]
	v_fma_f64 v[130:131], s[2:3], v[14:15], v[126:127]
	v_fma_f64 v[142:143], s[2:3], v[134:135], v[124:125]
	v_fmac_f64_e32 v[126:127], s[4:5], v[14:15]
	v_fmac_f64_e32 v[124:125], s[4:5], v[134:135]
	v_mul_f64 v[12:13], v[22:23], s[4:5]
	v_add_f64 v[14:15], v[118:119], v[120:121]
	v_fmac_f64_e32 v[12:13], 0.5, v[124:125]
	v_add_f64 v[120:121], v[26:27], v[14:15]
	v_add_f64 v[14:15], v[136:137], v[28:29]
	v_add_f64 v[24:25], v[126:127], -v[12:13]
	v_add_f64 v[50:51], v[14:15], v[50:51]
	v_add_f64 v[14:15], v[52:53], v[116:117]
	v_add_f64 v[26:27], v[118:119], -v[26:27]
	v_add_f64 v[118:119], v[126:127], v[12:13]
	v_mul_hi_u32 v12, v180, s0
	v_mul_f64 v[144:145], v[142:143], -0.5
	v_fma_f64 v[134:135], -0.5, v[14:15], v[122:123]
	v_mul_f64 v[124:125], v[124:125], s[2:3]
	v_lshrrev_b32_e32 v12, 9, v12
	v_fmac_f64_e32 v[144:145], s[4:5], v[54:55]
	v_fma_f64 v[136:137], s[4:5], v[26:27], v[134:135]
	v_mul_f64 v[54:55], v[54:55], -0.5
	v_fmac_f64_e32 v[134:135], s[2:3], v[26:27]
	v_fmac_f64_e32 v[124:125], 0.5, v[22:23]
	v_add_f64 v[26:27], v[122:123], v[52:53]
	v_mul_u32_u24_e32 v12, 0x21c, v12
	v_fmac_f64_e32 v[54:55], s[2:3], v[142:143]
	v_add_f64 v[22:23], v[134:135], -v[124:125]
	v_add_f64 v[142:143], v[26:27], v[116:117]
	v_add_f64 v[116:117], v[134:135], v[124:125]
	v_sub_u32_e32 v124, v180, v12
	v_add_f64 v[28:29], v[120:121], -v[50:51]
	v_add_f64 v[14:15], v[136:137], -v[54:55]
	v_add_f64 v[122:123], v[120:121], v[50:51]
	v_add_f64 v[50:51], v[136:137], v[54:55]
	v_mad_u64_u32 v[54:55], s[2:3], s16, v124, 0
	v_mov_b32_e32 v12, v55
	v_mad_u64_u32 v[12:13], s[2:3], s17, v124, v[12:13]
	v_add_f64 v[26:27], v[132:133], v[138:139]
	v_mov_b32_e32 v55, v12
	v_lshl_add_u64 v[12:13], v[128:129], 4, s[6:7]
	v_add_f64 v[132:133], v[26:27], v[140:141]
	v_lshl_add_u64 v[12:13], v[150:151], 4, v[12:13]
	v_add_f64 v[120:121], v[142:143], v[132:133]
	v_lshl_add_u64 v[54:55], v[54:55], 4, v[12:13]
	global_store_dwordx4 v[54:55], v[120:123], off
	v_add_f64 v[52:53], v[130:131], v[144:145]
	v_add_f64 v[26:27], v[142:143], -v[132:133]
	v_add_u32_e32 v121, 0x21c, v124
	v_mad_u64_u32 v[54:55], s[2:3], s16, v121, 0
	v_mov_b32_e32 v120, v55
	v_mad_u64_u32 v[120:121], s[2:3], s17, v121, v[120:121]
	v_mov_b32_e32 v55, v120
	v_lshl_add_u64 v[54:55], v[54:55], 4, v[12:13]
	global_store_dwordx4 v[54:55], v[116:119], off
	v_add_f64 v[16:17], v[130:131], -v[144:145]
	s_nop 0
	v_add_u32_e32 v117, 0x438, v124
	v_mad_u64_u32 v[54:55], s[2:3], s16, v117, 0
	v_mov_b32_e32 v116, v55
	v_mad_u64_u32 v[116:117], s[2:3], s17, v117, v[116:117]
	v_mov_b32_e32 v55, v116
	v_lshl_add_u64 v[54:55], v[54:55], 4, v[12:13]
	global_store_dwordx4 v[54:55], v[50:53], off
	s_nop 1
	v_add_u32_e32 v53, 0x654, v124
	v_mad_u64_u32 v[50:51], s[2:3], s16, v53, 0
	v_mov_b32_e32 v52, v51
	v_mad_u64_u32 v[52:53], s[2:3], s17, v53, v[52:53]
	v_mov_b32_e32 v51, v52
	v_lshl_add_u64 v[50:51], v[50:51], 4, v[12:13]
	global_store_dwordx4 v[50:51], v[26:29], off
	s_nop 1
	v_add_u32_e32 v29, 0x870, v124
	v_mad_u64_u32 v[26:27], s[2:3], s16, v29, 0
	v_mov_b32_e32 v28, v27
	v_mad_u64_u32 v[28:29], s[2:3], s17, v29, v[28:29]
	v_mov_b32_e32 v27, v28
	v_lshl_add_u64 v[26:27], v[26:27], 4, v[12:13]
	global_store_dwordx4 v[26:27], v[22:25], off
	s_nop 1
	v_add_u32_e32 v25, 0xa8c, v124
	v_mad_u64_u32 v[22:23], s[2:3], s16, v25, 0
	v_mov_b32_e32 v24, v23
	v_mad_u64_u32 v[24:25], s[2:3], s17, v25, v[24:25]
	v_mov_b32_e32 v23, v24
	v_lshl_add_u64 v[22:23], v[22:23], 4, v[12:13]
	global_store_dwordx4 v[22:23], v[14:17], off
	s_nop 1
	v_add_u32_e32 v14, 0x6c, v180
	v_mul_hi_u32 v15, v14, s0
	v_lshrrev_b32_e32 v15, 9, v15
	v_mul_u32_u24_e32 v16, 0x21c, v15
	v_sub_u32_e32 v14, v14, v16
	v_mad_u32_u24 v22, v15, s1, v14
	v_mad_u64_u32 v[14:15], s[2:3], s16, v22, 0
	v_mov_b32_e32 v16, v15
	v_mad_u64_u32 v[16:17], s[2:3], s17, v22, v[16:17]
	v_mov_b32_e32 v15, v16
	v_lshl_add_u64 v[14:15], v[14:15], 4, v[12:13]
	v_add_u32_e32 v17, 0x21c, v22
	global_store_dwordx4 v[14:15], v[112:115], off
	v_mad_u64_u32 v[14:15], s[2:3], s16, v17, 0
	v_mov_b32_e32 v16, v15
	v_mad_u64_u32 v[16:17], s[2:3], s17, v17, v[16:17]
	v_mov_b32_e32 v15, v16
	v_lshl_add_u64 v[14:15], v[14:15], 4, v[12:13]
	v_add_u32_e32 v17, 0x438, v22
	global_store_dwordx4 v[14:15], v[108:111], off
	v_mad_u64_u32 v[14:15], s[2:3], s16, v17, 0
	v_mov_b32_e32 v16, v15
	v_mad_u64_u32 v[16:17], s[2:3], s17, v17, v[16:17]
	v_mov_b32_e32 v15, v16
	v_lshl_add_u64 v[14:15], v[14:15], 4, v[12:13]
	v_add_u32_e32 v17, 0x654, v22
	global_store_dwordx4 v[14:15], v[104:107], off
	v_mad_u64_u32 v[14:15], s[2:3], s16, v17, 0
	v_mov_b32_e32 v16, v15
	v_mad_u64_u32 v[16:17], s[2:3], s17, v17, v[16:17]
	v_mov_b32_e32 v15, v16
	v_lshl_add_u64 v[14:15], v[14:15], 4, v[12:13]
	v_add_u32_e32 v17, 0x870, v22
	global_store_dwordx4 v[14:15], v[42:45], off
	v_mad_u64_u32 v[14:15], s[2:3], s16, v17, 0
	v_mov_b32_e32 v16, v15
	v_mad_u64_u32 v[16:17], s[2:3], s17, v17, v[16:17]
	v_mov_b32_e32 v15, v16
	v_lshl_add_u64 v[14:15], v[14:15], 4, v[12:13]
	v_add_u32_e32 v17, 0xa8c, v22
	global_store_dwordx4 v[14:15], v[38:41], off
	v_mad_u64_u32 v[14:15], s[2:3], s16, v17, 0
	v_mov_b32_e32 v16, v15
	v_mad_u64_u32 v[16:17], s[2:3], s17, v17, v[16:17]
	v_mov_b32_e32 v15, v16
	v_lshl_add_u64 v[14:15], v[14:15], 4, v[12:13]
	global_store_dwordx4 v[14:15], v[34:37], off
	v_add_u32_e32 v14, 0xd8, v180
	v_mul_hi_u32 v15, v14, s0
	v_lshrrev_b32_e32 v15, 9, v15
	v_mul_u32_u24_e32 v16, 0x21c, v15
	v_sub_u32_e32 v14, v14, v16
	v_mad_u32_u24 v22, v15, s1, v14
	v_mad_u64_u32 v[14:15], s[2:3], s16, v22, 0
	v_mov_b32_e32 v16, v15
	v_mad_u64_u32 v[16:17], s[2:3], s17, v22, v[16:17]
	v_mov_b32_e32 v15, v16
	v_lshl_add_u64 v[14:15], v[14:15], 4, v[12:13]
	v_add_u32_e32 v17, 0x21c, v22
	global_store_dwordx4 v[14:15], v[100:103], off
	v_mad_u64_u32 v[14:15], s[2:3], s16, v17, 0
	v_mov_b32_e32 v16, v15
	v_mad_u64_u32 v[16:17], s[2:3], s17, v17, v[16:17]
	v_mov_b32_e32 v15, v16
	v_lshl_add_u64 v[14:15], v[14:15], 4, v[12:13]
	v_add_u32_e32 v17, 0x438, v22
	global_store_dwordx4 v[14:15], v[96:99], off
	v_mad_u64_u32 v[14:15], s[2:3], s16, v17, 0
	v_mov_b32_e32 v16, v15
	v_mad_u64_u32 v[16:17], s[2:3], s17, v17, v[16:17]
	v_mov_b32_e32 v15, v16
	v_lshl_add_u64 v[14:15], v[14:15], 4, v[12:13]
	v_add_u32_e32 v17, 0x654, v22
	global_store_dwordx4 v[14:15], v[92:95], off
	v_mad_u64_u32 v[14:15], s[2:3], s16, v17, 0
	v_mov_b32_e32 v16, v15
	v_mad_u64_u32 v[16:17], s[2:3], s17, v17, v[16:17]
	v_mov_b32_e32 v15, v16
	v_lshl_add_u64 v[14:15], v[14:15], 4, v[12:13]
	v_add_u32_e32 v17, 0x870, v22
	global_store_dwordx4 v[14:15], v[88:91], off
	v_mad_u64_u32 v[14:15], s[2:3], s16, v17, 0
	v_mov_b32_e32 v16, v15
	v_mad_u64_u32 v[16:17], s[2:3], s17, v17, v[16:17]
	v_mov_b32_e32 v15, v16
	v_lshl_add_u64 v[14:15], v[14:15], 4, v[12:13]
	v_add_u32_e32 v17, 0xa8c, v22
	global_store_dwordx4 v[14:15], v[84:87], off
	v_mad_u64_u32 v[14:15], s[2:3], s16, v17, 0
	v_mov_b32_e32 v16, v15
	v_mad_u64_u32 v[16:17], s[2:3], s17, v17, v[16:17]
	v_mov_b32_e32 v15, v16
	v_lshl_add_u64 v[14:15], v[14:15], 4, v[12:13]
	global_store_dwordx4 v[14:15], v[80:83], off
	;; [unrolled: 47-line block ×3, first 2 shown]
	v_add_u32_e32 v14, 0x1b0, v180
	v_mul_hi_u32 v15, v14, s0
	v_lshrrev_b32_e32 v15, 9, v15
	v_mul_u32_u24_e32 v16, 0x21c, v15
	v_sub_u32_e32 v14, v14, v16
	v_mad_u32_u24 v22, v15, s1, v14
	v_mad_u64_u32 v[14:15], s[0:1], s16, v22, 0
	v_mov_b32_e32 v16, v15
	v_mad_u64_u32 v[16:17], s[0:1], s17, v22, v[16:17]
	v_mov_b32_e32 v15, v16
	v_lshl_add_u64 v[14:15], v[14:15], 4, v[12:13]
	v_add_u32_e32 v17, 0x21c, v22
	global_store_dwordx4 v[14:15], v[46:49], off
	v_mad_u64_u32 v[14:15], s[0:1], s16, v17, 0
	v_mov_b32_e32 v16, v15
	v_mad_u64_u32 v[16:17], s[0:1], s17, v17, v[16:17]
	v_mov_b32_e32 v15, v16
	v_lshl_add_u64 v[14:15], v[14:15], 4, v[12:13]
	v_add_u32_e32 v17, 0x438, v22
	global_store_dwordx4 v[14:15], v[30:33], off
	;; [unrolled: 7-line block ×3, first 2 shown]
	v_mad_u64_u32 v[14:15], s[0:1], s16, v17, 0
	v_mov_b32_e32 v16, v15
	v_mad_u64_u32 v[16:17], s[0:1], s17, v17, v[16:17]
	v_mov_b32_e32 v15, v16
	v_lshl_add_u64 v[14:15], v[14:15], 4, v[12:13]
	global_store_dwordx4 v[14:15], v[8:11], off
	s_nop 1
	v_add_u32_e32 v11, 0x870, v22
	v_mad_u64_u32 v[8:9], s[0:1], s16, v11, 0
	v_mov_b32_e32 v10, v9
	v_mad_u64_u32 v[10:11], s[0:1], s17, v11, v[10:11]
	v_mov_b32_e32 v9, v10
	v_lshl_add_u64 v[8:9], v[8:9], 4, v[12:13]
	global_store_dwordx4 v[8:9], v[4:7], off
	s_nop 1
	v_add_u32_e32 v7, 0xa8c, v22
	v_mad_u64_u32 v[4:5], s[0:1], s16, v7, 0
	v_mov_b32_e32 v6, v5
	v_mad_u64_u32 v[6:7], s[0:1], s17, v7, v[6:7]
	v_mov_b32_e32 v5, v6
	v_lshl_add_u64 v[4:5], v[4:5], 4, v[12:13]
	global_store_dwordx4 v[4:5], v[0:3], off
.LBB0_15:
	s_endpgm
	.section	.rodata,"a",@progbits
	.p2align	6, 0x0
	.amdhsa_kernel fft_rtc_fwd_len3240_factors_3_3_10_6_6_wgs_108_tpt_108_halfLds_dp_op_CI_CI_sbrr_dirReg
		.amdhsa_group_segment_fixed_size 0
		.amdhsa_private_segment_fixed_size 0
		.amdhsa_kernarg_size 104
		.amdhsa_user_sgpr_count 2
		.amdhsa_user_sgpr_dispatch_ptr 0
		.amdhsa_user_sgpr_queue_ptr 0
		.amdhsa_user_sgpr_kernarg_segment_ptr 1
		.amdhsa_user_sgpr_dispatch_id 0
		.amdhsa_user_sgpr_kernarg_preload_length 0
		.amdhsa_user_sgpr_kernarg_preload_offset 0
		.amdhsa_user_sgpr_private_segment_size 0
		.amdhsa_uses_dynamic_stack 0
		.amdhsa_enable_private_segment 0
		.amdhsa_system_sgpr_workgroup_id_x 1
		.amdhsa_system_sgpr_workgroup_id_y 0
		.amdhsa_system_sgpr_workgroup_id_z 0
		.amdhsa_system_sgpr_workgroup_info 0
		.amdhsa_system_vgpr_workitem_id 0
		.amdhsa_next_free_vgpr 238
		.amdhsa_next_free_sgpr 32
		.amdhsa_accum_offset 240
		.amdhsa_reserve_vcc 1
		.amdhsa_float_round_mode_32 0
		.amdhsa_float_round_mode_16_64 0
		.amdhsa_float_denorm_mode_32 3
		.amdhsa_float_denorm_mode_16_64 3
		.amdhsa_dx10_clamp 1
		.amdhsa_ieee_mode 1
		.amdhsa_fp16_overflow 0
		.amdhsa_tg_split 0
		.amdhsa_exception_fp_ieee_invalid_op 0
		.amdhsa_exception_fp_denorm_src 0
		.amdhsa_exception_fp_ieee_div_zero 0
		.amdhsa_exception_fp_ieee_overflow 0
		.amdhsa_exception_fp_ieee_underflow 0
		.amdhsa_exception_fp_ieee_inexact 0
		.amdhsa_exception_int_div_zero 0
	.end_amdhsa_kernel
	.text
.Lfunc_end0:
	.size	fft_rtc_fwd_len3240_factors_3_3_10_6_6_wgs_108_tpt_108_halfLds_dp_op_CI_CI_sbrr_dirReg, .Lfunc_end0-fft_rtc_fwd_len3240_factors_3_3_10_6_6_wgs_108_tpt_108_halfLds_dp_op_CI_CI_sbrr_dirReg
                                        ; -- End function
	.section	.AMDGPU.csdata,"",@progbits
; Kernel info:
; codeLenInByte = 20928
; NumSgprs: 38
; NumVgprs: 238
; NumAgprs: 0
; TotalNumVgprs: 238
; ScratchSize: 0
; MemoryBound: 1
; FloatMode: 240
; IeeeMode: 1
; LDSByteSize: 0 bytes/workgroup (compile time only)
; SGPRBlocks: 4
; VGPRBlocks: 29
; NumSGPRsForWavesPerEU: 38
; NumVGPRsForWavesPerEU: 238
; AccumOffset: 240
; Occupancy: 2
; WaveLimiterHint : 1
; COMPUTE_PGM_RSRC2:SCRATCH_EN: 0
; COMPUTE_PGM_RSRC2:USER_SGPR: 2
; COMPUTE_PGM_RSRC2:TRAP_HANDLER: 0
; COMPUTE_PGM_RSRC2:TGID_X_EN: 1
; COMPUTE_PGM_RSRC2:TGID_Y_EN: 0
; COMPUTE_PGM_RSRC2:TGID_Z_EN: 0
; COMPUTE_PGM_RSRC2:TIDIG_COMP_CNT: 0
; COMPUTE_PGM_RSRC3_GFX90A:ACCUM_OFFSET: 59
; COMPUTE_PGM_RSRC3_GFX90A:TG_SPLIT: 0
	.text
	.p2alignl 6, 3212836864
	.fill 256, 4, 3212836864
	.type	__hip_cuid_d5cefbedda7ecfcd,@object ; @__hip_cuid_d5cefbedda7ecfcd
	.section	.bss,"aw",@nobits
	.globl	__hip_cuid_d5cefbedda7ecfcd
__hip_cuid_d5cefbedda7ecfcd:
	.byte	0                               ; 0x0
	.size	__hip_cuid_d5cefbedda7ecfcd, 1

	.ident	"AMD clang version 19.0.0git (https://github.com/RadeonOpenCompute/llvm-project roc-6.4.0 25133 c7fe45cf4b819c5991fe208aaa96edf142730f1d)"
	.section	".note.GNU-stack","",@progbits
	.addrsig
	.addrsig_sym __hip_cuid_d5cefbedda7ecfcd
	.amdgpu_metadata
---
amdhsa.kernels:
  - .agpr_count:     0
    .args:
      - .actual_access:  read_only
        .address_space:  global
        .offset:         0
        .size:           8
        .value_kind:     global_buffer
      - .offset:         8
        .size:           8
        .value_kind:     by_value
      - .actual_access:  read_only
        .address_space:  global
        .offset:         16
        .size:           8
        .value_kind:     global_buffer
      - .actual_access:  read_only
        .address_space:  global
        .offset:         24
        .size:           8
        .value_kind:     global_buffer
      - .actual_access:  read_only
        .address_space:  global
        .offset:         32
        .size:           8
        .value_kind:     global_buffer
      - .offset:         40
        .size:           8
        .value_kind:     by_value
      - .actual_access:  read_only
        .address_space:  global
        .offset:         48
        .size:           8
        .value_kind:     global_buffer
      - .actual_access:  read_only
        .address_space:  global
        .offset:         56
        .size:           8
        .value_kind:     global_buffer
      - .offset:         64
        .size:           4
        .value_kind:     by_value
      - .actual_access:  read_only
        .address_space:  global
        .offset:         72
        .size:           8
        .value_kind:     global_buffer
      - .actual_access:  read_only
        .address_space:  global
        .offset:         80
        .size:           8
        .value_kind:     global_buffer
      - .actual_access:  read_only
        .address_space:  global
        .offset:         88
        .size:           8
        .value_kind:     global_buffer
      - .actual_access:  write_only
        .address_space:  global
        .offset:         96
        .size:           8
        .value_kind:     global_buffer
    .group_segment_fixed_size: 0
    .kernarg_segment_align: 8
    .kernarg_segment_size: 104
    .language:       OpenCL C
    .language_version:
      - 2
      - 0
    .max_flat_workgroup_size: 108
    .name:           fft_rtc_fwd_len3240_factors_3_3_10_6_6_wgs_108_tpt_108_halfLds_dp_op_CI_CI_sbrr_dirReg
    .private_segment_fixed_size: 0
    .sgpr_count:     38
    .sgpr_spill_count: 0
    .symbol:         fft_rtc_fwd_len3240_factors_3_3_10_6_6_wgs_108_tpt_108_halfLds_dp_op_CI_CI_sbrr_dirReg.kd
    .uniform_work_group_size: 1
    .uses_dynamic_stack: false
    .vgpr_count:     238
    .vgpr_spill_count: 0
    .wavefront_size: 64
amdhsa.target:   amdgcn-amd-amdhsa--gfx950
amdhsa.version:
  - 1
  - 2
...

	.end_amdgpu_metadata
